;; amdgpu-corpus repo=ROCm/rocFFT kind=compiled arch=gfx1100 opt=O3
	.text
	.amdgcn_target "amdgcn-amd-amdhsa--gfx1100"
	.amdhsa_code_object_version 6
	.protected	fft_rtc_fwd_len1452_factors_11_3_11_4_wgs_132_tpt_132_halfLds_dp_ip_CI_unitstride_sbrr_C2R_dirReg ; -- Begin function fft_rtc_fwd_len1452_factors_11_3_11_4_wgs_132_tpt_132_halfLds_dp_ip_CI_unitstride_sbrr_C2R_dirReg
	.globl	fft_rtc_fwd_len1452_factors_11_3_11_4_wgs_132_tpt_132_halfLds_dp_ip_CI_unitstride_sbrr_C2R_dirReg
	.p2align	8
	.type	fft_rtc_fwd_len1452_factors_11_3_11_4_wgs_132_tpt_132_halfLds_dp_ip_CI_unitstride_sbrr_C2R_dirReg,@function
fft_rtc_fwd_len1452_factors_11_3_11_4_wgs_132_tpt_132_halfLds_dp_ip_CI_unitstride_sbrr_C2R_dirReg: ; @fft_rtc_fwd_len1452_factors_11_3_11_4_wgs_132_tpt_132_halfLds_dp_ip_CI_unitstride_sbrr_C2R_dirReg
; %bb.0:
	s_clause 0x2
	s_load_b128 s[4:7], s[0:1], 0x0
	s_load_b64 s[8:9], s[0:1], 0x50
	s_load_b64 s[10:11], s[0:1], 0x18
	v_mul_u32_u24_e32 v1, 0x1f1, v0
	v_mov_b32_e32 v3, 0
	v_mov_b32_e32 v4, 0
	s_delay_alu instid0(VALU_DEP_3) | instskip(SKIP_1) | instid1(VALU_DEP_1)
	v_lshrrev_b32_e32 v2, 16, v1
	v_mov_b32_e32 v1, 0
	v_dual_mov_b32 v6, v1 :: v_dual_add_nc_u32 v5, s15, v2
	s_waitcnt lgkmcnt(0)
	v_cmp_lt_u64_e64 s2, s[6:7], 2
	s_delay_alu instid0(VALU_DEP_1)
	s_and_b32 vcc_lo, exec_lo, s2
	s_cbranch_vccnz .LBB0_8
; %bb.1:
	s_load_b64 s[2:3], s[0:1], 0x10
	v_mov_b32_e32 v3, 0
	s_add_u32 s12, s10, 8
	v_mov_b32_e32 v4, 0
	s_addc_u32 s13, s11, 0
	s_mov_b64 s[16:17], 1
	s_waitcnt lgkmcnt(0)
	s_add_u32 s14, s2, 8
	s_addc_u32 s15, s3, 0
.LBB0_2:                                ; =>This Inner Loop Header: Depth=1
	s_load_b64 s[18:19], s[14:15], 0x0
                                        ; implicit-def: $vgpr7_vgpr8
	s_mov_b32 s2, exec_lo
	s_waitcnt lgkmcnt(0)
	v_or_b32_e32 v2, s19, v6
	s_delay_alu instid0(VALU_DEP_1)
	v_cmpx_ne_u64_e32 0, v[1:2]
	s_xor_b32 s3, exec_lo, s2
	s_cbranch_execz .LBB0_4
; %bb.3:                                ;   in Loop: Header=BB0_2 Depth=1
	v_cvt_f32_u32_e32 v2, s18
	v_cvt_f32_u32_e32 v7, s19
	s_sub_u32 s2, 0, s18
	s_subb_u32 s20, 0, s19
	s_delay_alu instid0(VALU_DEP_1) | instskip(NEXT) | instid1(VALU_DEP_1)
	v_fmac_f32_e32 v2, 0x4f800000, v7
	v_rcp_f32_e32 v2, v2
	s_waitcnt_depctr 0xfff
	v_mul_f32_e32 v2, 0x5f7ffffc, v2
	s_delay_alu instid0(VALU_DEP_1) | instskip(NEXT) | instid1(VALU_DEP_1)
	v_mul_f32_e32 v7, 0x2f800000, v2
	v_trunc_f32_e32 v7, v7
	s_delay_alu instid0(VALU_DEP_1) | instskip(SKIP_1) | instid1(VALU_DEP_2)
	v_fmac_f32_e32 v2, 0xcf800000, v7
	v_cvt_u32_f32_e32 v7, v7
	v_cvt_u32_f32_e32 v2, v2
	s_delay_alu instid0(VALU_DEP_2) | instskip(NEXT) | instid1(VALU_DEP_2)
	v_mul_lo_u32 v8, s2, v7
	v_mul_hi_u32 v9, s2, v2
	v_mul_lo_u32 v10, s20, v2
	s_delay_alu instid0(VALU_DEP_2) | instskip(SKIP_1) | instid1(VALU_DEP_2)
	v_add_nc_u32_e32 v8, v9, v8
	v_mul_lo_u32 v9, s2, v2
	v_add_nc_u32_e32 v8, v8, v10
	s_delay_alu instid0(VALU_DEP_2) | instskip(NEXT) | instid1(VALU_DEP_2)
	v_mul_hi_u32 v10, v2, v9
	v_mul_lo_u32 v11, v2, v8
	v_mul_hi_u32 v12, v2, v8
	v_mul_hi_u32 v13, v7, v9
	v_mul_lo_u32 v9, v7, v9
	v_mul_hi_u32 v14, v7, v8
	v_mul_lo_u32 v8, v7, v8
	v_add_co_u32 v10, vcc_lo, v10, v11
	v_add_co_ci_u32_e32 v11, vcc_lo, 0, v12, vcc_lo
	s_delay_alu instid0(VALU_DEP_2) | instskip(NEXT) | instid1(VALU_DEP_2)
	v_add_co_u32 v9, vcc_lo, v10, v9
	v_add_co_ci_u32_e32 v9, vcc_lo, v11, v13, vcc_lo
	v_add_co_ci_u32_e32 v10, vcc_lo, 0, v14, vcc_lo
	s_delay_alu instid0(VALU_DEP_2) | instskip(NEXT) | instid1(VALU_DEP_2)
	v_add_co_u32 v8, vcc_lo, v9, v8
	v_add_co_ci_u32_e32 v9, vcc_lo, 0, v10, vcc_lo
	s_delay_alu instid0(VALU_DEP_2) | instskip(NEXT) | instid1(VALU_DEP_2)
	v_add_co_u32 v2, vcc_lo, v2, v8
	v_add_co_ci_u32_e32 v7, vcc_lo, v7, v9, vcc_lo
	s_delay_alu instid0(VALU_DEP_2) | instskip(SKIP_1) | instid1(VALU_DEP_3)
	v_mul_hi_u32 v8, s2, v2
	v_mul_lo_u32 v10, s20, v2
	v_mul_lo_u32 v9, s2, v7
	s_delay_alu instid0(VALU_DEP_1) | instskip(SKIP_1) | instid1(VALU_DEP_2)
	v_add_nc_u32_e32 v8, v8, v9
	v_mul_lo_u32 v9, s2, v2
	v_add_nc_u32_e32 v8, v8, v10
	s_delay_alu instid0(VALU_DEP_2) | instskip(NEXT) | instid1(VALU_DEP_2)
	v_mul_hi_u32 v10, v2, v9
	v_mul_lo_u32 v11, v2, v8
	v_mul_hi_u32 v12, v2, v8
	v_mul_hi_u32 v13, v7, v9
	v_mul_lo_u32 v9, v7, v9
	v_mul_hi_u32 v14, v7, v8
	v_mul_lo_u32 v8, v7, v8
	v_add_co_u32 v10, vcc_lo, v10, v11
	v_add_co_ci_u32_e32 v11, vcc_lo, 0, v12, vcc_lo
	s_delay_alu instid0(VALU_DEP_2) | instskip(NEXT) | instid1(VALU_DEP_2)
	v_add_co_u32 v9, vcc_lo, v10, v9
	v_add_co_ci_u32_e32 v9, vcc_lo, v11, v13, vcc_lo
	v_add_co_ci_u32_e32 v10, vcc_lo, 0, v14, vcc_lo
	s_delay_alu instid0(VALU_DEP_2) | instskip(NEXT) | instid1(VALU_DEP_2)
	v_add_co_u32 v8, vcc_lo, v9, v8
	v_add_co_ci_u32_e32 v9, vcc_lo, 0, v10, vcc_lo
	s_delay_alu instid0(VALU_DEP_2) | instskip(NEXT) | instid1(VALU_DEP_2)
	v_add_co_u32 v2, vcc_lo, v2, v8
	v_add_co_ci_u32_e32 v13, vcc_lo, v7, v9, vcc_lo
	s_delay_alu instid0(VALU_DEP_2) | instskip(SKIP_1) | instid1(VALU_DEP_3)
	v_mul_hi_u32 v14, v5, v2
	v_mad_u64_u32 v[9:10], null, v6, v2, 0
	v_mad_u64_u32 v[7:8], null, v5, v13, 0
	;; [unrolled: 1-line block ×3, first 2 shown]
	s_delay_alu instid0(VALU_DEP_2) | instskip(NEXT) | instid1(VALU_DEP_3)
	v_add_co_u32 v2, vcc_lo, v14, v7
	v_add_co_ci_u32_e32 v7, vcc_lo, 0, v8, vcc_lo
	s_delay_alu instid0(VALU_DEP_2) | instskip(NEXT) | instid1(VALU_DEP_2)
	v_add_co_u32 v2, vcc_lo, v2, v9
	v_add_co_ci_u32_e32 v2, vcc_lo, v7, v10, vcc_lo
	v_add_co_ci_u32_e32 v7, vcc_lo, 0, v12, vcc_lo
	s_delay_alu instid0(VALU_DEP_2) | instskip(NEXT) | instid1(VALU_DEP_2)
	v_add_co_u32 v2, vcc_lo, v2, v11
	v_add_co_ci_u32_e32 v9, vcc_lo, 0, v7, vcc_lo
	s_delay_alu instid0(VALU_DEP_2) | instskip(SKIP_1) | instid1(VALU_DEP_3)
	v_mul_lo_u32 v10, s19, v2
	v_mad_u64_u32 v[7:8], null, s18, v2, 0
	v_mul_lo_u32 v11, s18, v9
	s_delay_alu instid0(VALU_DEP_2) | instskip(NEXT) | instid1(VALU_DEP_2)
	v_sub_co_u32 v7, vcc_lo, v5, v7
	v_add3_u32 v8, v8, v11, v10
	s_delay_alu instid0(VALU_DEP_1) | instskip(NEXT) | instid1(VALU_DEP_1)
	v_sub_nc_u32_e32 v10, v6, v8
	v_subrev_co_ci_u32_e64 v10, s2, s19, v10, vcc_lo
	v_add_co_u32 v11, s2, v2, 2
	s_delay_alu instid0(VALU_DEP_1) | instskip(SKIP_3) | instid1(VALU_DEP_3)
	v_add_co_ci_u32_e64 v12, s2, 0, v9, s2
	v_sub_co_u32 v13, s2, v7, s18
	v_sub_co_ci_u32_e32 v8, vcc_lo, v6, v8, vcc_lo
	v_subrev_co_ci_u32_e64 v10, s2, 0, v10, s2
	v_cmp_le_u32_e32 vcc_lo, s18, v13
	s_delay_alu instid0(VALU_DEP_3) | instskip(SKIP_1) | instid1(VALU_DEP_4)
	v_cmp_eq_u32_e64 s2, s19, v8
	v_cndmask_b32_e64 v13, 0, -1, vcc_lo
	v_cmp_le_u32_e32 vcc_lo, s19, v10
	v_cndmask_b32_e64 v14, 0, -1, vcc_lo
	v_cmp_le_u32_e32 vcc_lo, s18, v7
	;; [unrolled: 2-line block ×3, first 2 shown]
	v_cndmask_b32_e64 v15, 0, -1, vcc_lo
	v_cmp_eq_u32_e32 vcc_lo, s19, v10
	s_delay_alu instid0(VALU_DEP_2) | instskip(SKIP_3) | instid1(VALU_DEP_3)
	v_cndmask_b32_e64 v7, v15, v7, s2
	v_cndmask_b32_e32 v10, v14, v13, vcc_lo
	v_add_co_u32 v13, vcc_lo, v2, 1
	v_add_co_ci_u32_e32 v14, vcc_lo, 0, v9, vcc_lo
	v_cmp_ne_u32_e32 vcc_lo, 0, v10
	s_delay_alu instid0(VALU_DEP_2) | instskip(NEXT) | instid1(VALU_DEP_4)
	v_cndmask_b32_e32 v8, v14, v12, vcc_lo
	v_cndmask_b32_e32 v10, v13, v11, vcc_lo
	v_cmp_ne_u32_e32 vcc_lo, 0, v7
	s_delay_alu instid0(VALU_DEP_2)
	v_dual_cndmask_b32 v7, v2, v10 :: v_dual_cndmask_b32 v8, v9, v8
.LBB0_4:                                ;   in Loop: Header=BB0_2 Depth=1
	s_and_not1_saveexec_b32 s2, s3
	s_cbranch_execz .LBB0_6
; %bb.5:                                ;   in Loop: Header=BB0_2 Depth=1
	v_cvt_f32_u32_e32 v2, s18
	s_sub_i32 s3, 0, s18
	s_delay_alu instid0(VALU_DEP_1) | instskip(SKIP_2) | instid1(VALU_DEP_1)
	v_rcp_iflag_f32_e32 v2, v2
	s_waitcnt_depctr 0xfff
	v_mul_f32_e32 v2, 0x4f7ffffe, v2
	v_cvt_u32_f32_e32 v2, v2
	s_delay_alu instid0(VALU_DEP_1) | instskip(NEXT) | instid1(VALU_DEP_1)
	v_mul_lo_u32 v7, s3, v2
	v_mul_hi_u32 v7, v2, v7
	s_delay_alu instid0(VALU_DEP_1) | instskip(NEXT) | instid1(VALU_DEP_1)
	v_add_nc_u32_e32 v2, v2, v7
	v_mul_hi_u32 v2, v5, v2
	s_delay_alu instid0(VALU_DEP_1) | instskip(SKIP_1) | instid1(VALU_DEP_2)
	v_mul_lo_u32 v7, v2, s18
	v_add_nc_u32_e32 v8, 1, v2
	v_sub_nc_u32_e32 v7, v5, v7
	s_delay_alu instid0(VALU_DEP_1) | instskip(SKIP_1) | instid1(VALU_DEP_2)
	v_subrev_nc_u32_e32 v9, s18, v7
	v_cmp_le_u32_e32 vcc_lo, s18, v7
	v_dual_cndmask_b32 v7, v7, v9 :: v_dual_cndmask_b32 v2, v2, v8
	s_delay_alu instid0(VALU_DEP_1) | instskip(NEXT) | instid1(VALU_DEP_2)
	v_cmp_le_u32_e32 vcc_lo, s18, v7
	v_add_nc_u32_e32 v8, 1, v2
	s_delay_alu instid0(VALU_DEP_1)
	v_dual_cndmask_b32 v7, v2, v8 :: v_dual_mov_b32 v8, v1
.LBB0_6:                                ;   in Loop: Header=BB0_2 Depth=1
	s_or_b32 exec_lo, exec_lo, s2
	s_load_b64 s[2:3], s[12:13], 0x0
	s_delay_alu instid0(VALU_DEP_1) | instskip(NEXT) | instid1(VALU_DEP_2)
	v_mul_lo_u32 v2, v8, s18
	v_mul_lo_u32 v11, v7, s19
	v_mad_u64_u32 v[9:10], null, v7, s18, 0
	s_add_u32 s16, s16, 1
	s_addc_u32 s17, s17, 0
	s_add_u32 s12, s12, 8
	s_addc_u32 s13, s13, 0
	;; [unrolled: 2-line block ×3, first 2 shown]
	s_delay_alu instid0(VALU_DEP_1) | instskip(SKIP_1) | instid1(VALU_DEP_2)
	v_add3_u32 v2, v10, v11, v2
	v_sub_co_u32 v9, vcc_lo, v5, v9
	v_sub_co_ci_u32_e32 v2, vcc_lo, v6, v2, vcc_lo
	s_waitcnt lgkmcnt(0)
	s_delay_alu instid0(VALU_DEP_2) | instskip(NEXT) | instid1(VALU_DEP_2)
	v_mul_lo_u32 v10, s3, v9
	v_mul_lo_u32 v2, s2, v2
	v_mad_u64_u32 v[5:6], null, s2, v9, v[3:4]
	v_cmp_ge_u64_e64 s2, s[16:17], s[6:7]
	s_delay_alu instid0(VALU_DEP_1) | instskip(NEXT) | instid1(VALU_DEP_2)
	s_and_b32 vcc_lo, exec_lo, s2
	v_add3_u32 v4, v10, v6, v2
	s_delay_alu instid0(VALU_DEP_3)
	v_mov_b32_e32 v3, v5
	s_cbranch_vccnz .LBB0_9
; %bb.7:                                ;   in Loop: Header=BB0_2 Depth=1
	v_dual_mov_b32 v5, v7 :: v_dual_mov_b32 v6, v8
	s_branch .LBB0_2
.LBB0_8:
	v_dual_mov_b32 v8, v6 :: v_dual_mov_b32 v7, v5
.LBB0_9:
	s_lshl_b64 s[2:3], s[6:7], 3
	s_delay_alu instid0(SALU_CYCLE_1)
	s_add_u32 s2, s10, s2
	s_addc_u32 s3, s11, s3
	s_load_b64 s[2:3], s[2:3], 0x0
	s_load_b64 s[0:1], s[0:1], 0x20
	s_waitcnt lgkmcnt(0)
	v_mul_lo_u32 v5, s2, v8
	v_mul_lo_u32 v6, s3, v7
	v_mad_u64_u32 v[1:2], null, s2, v7, v[3:4]
	v_mul_hi_u32 v3, 0x1f07c20, v0
	v_cmp_gt_u64_e32 vcc_lo, s[0:1], v[7:8]
	s_delay_alu instid0(VALU_DEP_3) | instskip(NEXT) | instid1(VALU_DEP_3)
	v_add3_u32 v2, v6, v2, v5
	v_mul_u32_u24_e32 v3, 0x84, v3
	s_delay_alu instid0(VALU_DEP_2) | instskip(NEXT) | instid1(VALU_DEP_2)
	v_lshlrev_b64 v[50:51], 4, v[1:2]
	v_sub_nc_u32_e32 v48, v0, v3
	s_and_saveexec_b32 s1, vcc_lo
	s_cbranch_execz .LBB0_13
; %bb.10:
	v_mov_b32_e32 v49, 0
	s_delay_alu instid0(VALU_DEP_3) | instskip(NEXT) | instid1(VALU_DEP_1)
	v_add_co_u32 v0, s0, s8, v50
	v_add_co_ci_u32_e64 v1, s0, s9, v51, s0
	s_delay_alu instid0(VALU_DEP_3) | instskip(SKIP_2) | instid1(VALU_DEP_2)
	v_lshlrev_b64 v[2:3], 4, v[48:49]
	v_lshl_add_u32 v46, v48, 4, 0
	s_mov_b32 s2, exec_lo
	v_add_co_u32 v26, s0, v0, v2
	s_delay_alu instid0(VALU_DEP_1) | instskip(NEXT) | instid1(VALU_DEP_2)
	v_add_co_ci_u32_e64 v27, s0, v1, v3, s0
	v_add_co_u32 v14, s0, 0x1000, v26
	s_delay_alu instid0(VALU_DEP_1) | instskip(SKIP_1) | instid1(VALU_DEP_1)
	v_add_co_ci_u32_e64 v15, s0, 0, v27, s0
	v_add_co_u32 v22, s0, 0x2000, v26
	v_add_co_ci_u32_e64 v23, s0, 0, v27, s0
	v_add_co_u32 v30, s0, 0x3000, v26
	s_delay_alu instid0(VALU_DEP_1) | instskip(SKIP_1) | instid1(VALU_DEP_1)
	v_add_co_ci_u32_e64 v31, s0, 0, v27, s0
	v_add_co_u32 v38, s0, 0x4000, v26
	v_add_co_ci_u32_e64 v39, s0, 0, v27, s0
	v_add_co_u32 v42, s0, 0x5000, v26
	s_delay_alu instid0(VALU_DEP_1)
	v_add_co_ci_u32_e64 v43, s0, 0, v27, s0
	s_clause 0xa
	global_load_b128 v[2:5], v[26:27], off
	global_load_b128 v[6:9], v[26:27], off offset:2112
	global_load_b128 v[10:13], v[14:15], off offset:128
	;; [unrolled: 1-line block ×10, first 2 shown]
	s_waitcnt vmcnt(10)
	ds_store_b128 v46, v[2:5]
	s_waitcnt vmcnt(9)
	ds_store_b128 v46, v[6:9] offset:2112
	s_waitcnt vmcnt(8)
	ds_store_b128 v46, v[10:13] offset:4224
	s_waitcnt vmcnt(7)
	ds_store_b128 v46, v[14:17] offset:6336
	s_waitcnt vmcnt(6)
	ds_store_b128 v46, v[18:21] offset:8448
	s_waitcnt vmcnt(5)
	ds_store_b128 v46, v[22:25] offset:10560
	s_waitcnt vmcnt(4)
	ds_store_b128 v46, v[26:29] offset:12672
	s_waitcnt vmcnt(3)
	ds_store_b128 v46, v[30:33] offset:14784
	s_waitcnt vmcnt(2)
	ds_store_b128 v46, v[34:37] offset:16896
	s_waitcnt vmcnt(1)
	ds_store_b128 v46, v[38:41] offset:19008
	s_waitcnt vmcnt(0)
	ds_store_b128 v46, v[42:45] offset:21120
	v_cmpx_eq_u32_e32 0x83, v48
	s_cbranch_execz .LBB0_12
; %bb.11:
	v_add_co_u32 v0, s0, 0x5000, v0
	s_delay_alu instid0(VALU_DEP_1)
	v_add_co_ci_u32_e64 v1, s0, 0, v1, s0
	v_mov_b32_e32 v48, 0x83
	global_load_b128 v[0:3], v[0:1], off offset:2752
	s_waitcnt vmcnt(0)
	ds_store_b128 v49, v[0:3] offset:23232
.LBB0_12:
	s_or_b32 exec_lo, exec_lo, s2
.LBB0_13:
	s_delay_alu instid0(SALU_CYCLE_1) | instskip(NEXT) | instid1(VALU_DEP_1)
	s_or_b32 exec_lo, exec_lo, s1
	v_lshlrev_b32_e32 v0, 4, v48
	s_waitcnt lgkmcnt(0)
	s_barrier
	buffer_gl0_inv
	s_add_u32 s1, s4, 0x5a10
	v_add_nc_u32_e32 v52, 0, v0
	v_sub_nc_u32_e32 v10, 0, v0
	s_addc_u32 s2, s5, 0
	s_mov_b32 s3, exec_lo
                                        ; implicit-def: $vgpr4_vgpr5
	ds_load_b64 v[6:7], v52
	ds_load_b64 v[8:9], v10 offset:23232
	s_waitcnt lgkmcnt(0)
	v_add_f64 v[0:1], v[6:7], v[8:9]
	v_add_f64 v[2:3], v[6:7], -v[8:9]
	v_cmpx_ne_u32_e32 0, v48
	s_xor_b32 s3, exec_lo, s3
	s_cbranch_execz .LBB0_15
; %bb.14:
	v_mov_b32_e32 v49, 0
	v_add_f64 v[13:14], v[6:7], v[8:9]
	v_add_f64 v[15:16], v[6:7], -v[8:9]
	s_delay_alu instid0(VALU_DEP_3) | instskip(NEXT) | instid1(VALU_DEP_1)
	v_lshlrev_b64 v[0:1], 4, v[48:49]
	v_add_co_u32 v0, s0, s1, v0
	s_delay_alu instid0(VALU_DEP_1)
	v_add_co_ci_u32_e64 v1, s0, s2, v1, s0
	global_load_b128 v[2:5], v[0:1], off
	ds_load_b64 v[0:1], v10 offset:23240
	ds_load_b64 v[11:12], v52 offset:8
	s_waitcnt lgkmcnt(0)
	v_add_f64 v[6:7], v[0:1], v[11:12]
	v_add_f64 v[0:1], v[11:12], -v[0:1]
	s_waitcnt vmcnt(0)
	v_fma_f64 v[8:9], v[15:16], v[4:5], v[13:14]
	v_fma_f64 v[11:12], -v[15:16], v[4:5], v[13:14]
	s_delay_alu instid0(VALU_DEP_3) | instskip(SKIP_1) | instid1(VALU_DEP_4)
	v_fma_f64 v[13:14], v[6:7], v[4:5], -v[0:1]
	v_fma_f64 v[4:5], v[6:7], v[4:5], v[0:1]
	v_fma_f64 v[0:1], -v[6:7], v[2:3], v[8:9]
	s_delay_alu instid0(VALU_DEP_4) | instskip(NEXT) | instid1(VALU_DEP_4)
	v_fma_f64 v[6:7], v[6:7], v[2:3], v[11:12]
	v_fma_f64 v[8:9], v[15:16], v[2:3], v[13:14]
	s_delay_alu instid0(VALU_DEP_4)
	v_fma_f64 v[2:3], v[15:16], v[2:3], v[4:5]
	v_dual_mov_b32 v4, v48 :: v_dual_mov_b32 v5, v49
	ds_store_b128 v10, v[6:9] offset:23232
.LBB0_15:
	s_and_not1_saveexec_b32 s0, s3
	s_cbranch_execz .LBB0_17
; %bb.16:
	v_mov_b32_e32 v8, 0
	ds_load_b128 v[4:7], v8 offset:11616
	s_waitcnt lgkmcnt(0)
	v_add_f64 v[11:12], v[4:5], v[4:5]
	v_mul_f64 v[13:14], v[6:7], -2.0
	v_mov_b32_e32 v4, 0
	v_mov_b32_e32 v5, 0
	ds_store_b128 v8, v[11:14] offset:11616
.LBB0_17:
	s_or_b32 exec_lo, exec_lo, s0
	v_lshlrev_b64 v[4:5], 4, v[4:5]
	ds_store_b128 v52, v[0:3]
	v_add_co_u32 v23, s0, s1, v4
	s_delay_alu instid0(VALU_DEP_1) | instskip(SKIP_1) | instid1(VALU_DEP_2)
	v_add_co_ci_u32_e64 v24, s0, s2, v5, s0
	s_mov_b32 s1, exec_lo
	v_add_co_u32 v8, s0, 0x1000, v23
	global_load_b128 v[4:7], v[23:24], off offset:2112
	v_add_co_ci_u32_e64 v9, s0, 0, v24, s0
	global_load_b128 v[11:14], v[8:9], off offset:128
	ds_load_b128 v[0:3], v52 offset:2112
	ds_load_b128 v[15:18], v10 offset:21120
	global_load_b128 v[19:22], v[8:9], off offset:2240
	s_waitcnt lgkmcnt(0)
	v_add_f64 v[8:9], v[0:1], v[15:16]
	v_add_f64 v[25:26], v[17:18], v[2:3]
	v_add_f64 v[15:16], v[0:1], -v[15:16]
	v_add_f64 v[0:1], v[2:3], -v[17:18]
	s_waitcnt vmcnt(2)
	s_delay_alu instid0(VALU_DEP_2) | instskip(NEXT) | instid1(VALU_DEP_2)
	v_fma_f64 v[2:3], v[15:16], v[6:7], v[8:9]
	v_fma_f64 v[17:18], v[25:26], v[6:7], v[0:1]
	v_fma_f64 v[8:9], -v[15:16], v[6:7], v[8:9]
	v_fma_f64 v[27:28], v[25:26], v[6:7], -v[0:1]
	s_delay_alu instid0(VALU_DEP_4) | instskip(NEXT) | instid1(VALU_DEP_4)
	v_fma_f64 v[0:1], -v[25:26], v[4:5], v[2:3]
	v_fma_f64 v[2:3], v[15:16], v[4:5], v[17:18]
	s_delay_alu instid0(VALU_DEP_4) | instskip(NEXT) | instid1(VALU_DEP_4)
	v_fma_f64 v[6:7], v[25:26], v[4:5], v[8:9]
	v_fma_f64 v[8:9], v[15:16], v[4:5], v[27:28]
	ds_store_b128 v52, v[0:3] offset:2112
	ds_store_b128 v10, v[6:9] offset:21120
	ds_load_b128 v[2:5], v52 offset:4224
	ds_load_b128 v[6:9], v10 offset:19008
	v_add_co_u32 v0, s0, 0x2000, v23
	s_delay_alu instid0(VALU_DEP_1)
	v_add_co_ci_u32_e64 v1, s0, 0, v24, s0
	global_load_b128 v[15:18], v[0:1], off offset:256
	s_waitcnt lgkmcnt(0)
	v_add_f64 v[23:24], v[2:3], v[6:7]
	v_add_f64 v[25:26], v[8:9], v[4:5]
	v_add_f64 v[27:28], v[2:3], -v[6:7]
	v_add_f64 v[2:3], v[4:5], -v[8:9]
	s_waitcnt vmcnt(2)
	s_delay_alu instid0(VALU_DEP_2) | instskip(NEXT) | instid1(VALU_DEP_2)
	v_fma_f64 v[4:5], v[27:28], v[13:14], v[23:24]
	v_fma_f64 v[6:7], v[25:26], v[13:14], v[2:3]
	v_fma_f64 v[8:9], -v[27:28], v[13:14], v[23:24]
	v_fma_f64 v[13:14], v[25:26], v[13:14], -v[2:3]
	s_delay_alu instid0(VALU_DEP_4) | instskip(NEXT) | instid1(VALU_DEP_4)
	v_fma_f64 v[2:3], -v[25:26], v[11:12], v[4:5]
	v_fma_f64 v[4:5], v[27:28], v[11:12], v[6:7]
	s_delay_alu instid0(VALU_DEP_4) | instskip(NEXT) | instid1(VALU_DEP_4)
	v_fma_f64 v[6:7], v[25:26], v[11:12], v[8:9]
	v_fma_f64 v[8:9], v[27:28], v[11:12], v[13:14]
	ds_store_b128 v52, v[2:5] offset:4224
	ds_store_b128 v10, v[6:9] offset:19008
	ds_load_b128 v[2:5], v52 offset:6336
	ds_load_b128 v[6:9], v10 offset:16896
	s_waitcnt lgkmcnt(0)
	v_add_f64 v[11:12], v[2:3], v[6:7]
	v_add_f64 v[13:14], v[8:9], v[4:5]
	v_add_f64 v[23:24], v[2:3], -v[6:7]
	v_add_f64 v[2:3], v[4:5], -v[8:9]
	s_waitcnt vmcnt(1)
	s_delay_alu instid0(VALU_DEP_2) | instskip(NEXT) | instid1(VALU_DEP_2)
	v_fma_f64 v[4:5], v[23:24], v[21:22], v[11:12]
	v_fma_f64 v[6:7], v[13:14], v[21:22], v[2:3]
	v_fma_f64 v[8:9], -v[23:24], v[21:22], v[11:12]
	v_fma_f64 v[11:12], v[13:14], v[21:22], -v[2:3]
	s_delay_alu instid0(VALU_DEP_4) | instskip(NEXT) | instid1(VALU_DEP_4)
	v_fma_f64 v[2:3], -v[13:14], v[19:20], v[4:5]
	v_fma_f64 v[4:5], v[23:24], v[19:20], v[6:7]
	s_delay_alu instid0(VALU_DEP_4) | instskip(NEXT) | instid1(VALU_DEP_4)
	v_fma_f64 v[6:7], v[13:14], v[19:20], v[8:9]
	v_fma_f64 v[8:9], v[23:24], v[19:20], v[11:12]
	ds_store_b128 v52, v[2:5] offset:6336
	ds_store_b128 v10, v[6:9] offset:16896
	ds_load_b128 v[2:5], v52 offset:8448
	ds_load_b128 v[6:9], v10 offset:14784
	s_waitcnt lgkmcnt(0)
	v_add_f64 v[11:12], v[2:3], v[6:7]
	v_add_f64 v[13:14], v[8:9], v[4:5]
	v_add_f64 v[19:20], v[2:3], -v[6:7]
	v_add_f64 v[2:3], v[4:5], -v[8:9]
	s_waitcnt vmcnt(0)
	s_delay_alu instid0(VALU_DEP_2) | instskip(NEXT) | instid1(VALU_DEP_2)
	v_fma_f64 v[4:5], v[19:20], v[17:18], v[11:12]
	v_fma_f64 v[6:7], v[13:14], v[17:18], v[2:3]
	v_fma_f64 v[8:9], -v[19:20], v[17:18], v[11:12]
	v_fma_f64 v[11:12], v[13:14], v[17:18], -v[2:3]
	s_delay_alu instid0(VALU_DEP_4) | instskip(NEXT) | instid1(VALU_DEP_4)
	v_fma_f64 v[2:3], -v[13:14], v[15:16], v[4:5]
	v_fma_f64 v[4:5], v[19:20], v[15:16], v[6:7]
	s_delay_alu instid0(VALU_DEP_4) | instskip(NEXT) | instid1(VALU_DEP_4)
	v_fma_f64 v[6:7], v[13:14], v[15:16], v[8:9]
	v_fma_f64 v[8:9], v[19:20], v[15:16], v[11:12]
	ds_store_b128 v52, v[2:5] offset:8448
	ds_store_b128 v10, v[6:9] offset:14784
	v_cmpx_gt_u32_e32 0x42, v48
	s_cbranch_execz .LBB0_19
; %bb.18:
	global_load_b128 v[0:3], v[0:1], off offset:2368
	ds_load_b128 v[4:7], v52 offset:10560
	ds_load_b128 v[11:14], v10 offset:12672
	s_waitcnt lgkmcnt(0)
	v_add_f64 v[8:9], v[4:5], v[11:12]
	v_add_f64 v[15:16], v[13:14], v[6:7]
	v_add_f64 v[11:12], v[4:5], -v[11:12]
	v_add_f64 v[4:5], v[6:7], -v[13:14]
	s_waitcnt vmcnt(0)
	s_delay_alu instid0(VALU_DEP_2) | instskip(NEXT) | instid1(VALU_DEP_2)
	v_fma_f64 v[6:7], v[11:12], v[2:3], v[8:9]
	v_fma_f64 v[13:14], v[15:16], v[2:3], v[4:5]
	v_fma_f64 v[8:9], -v[11:12], v[2:3], v[8:9]
	v_fma_f64 v[17:18], v[15:16], v[2:3], -v[4:5]
	s_delay_alu instid0(VALU_DEP_4) | instskip(NEXT) | instid1(VALU_DEP_4)
	v_fma_f64 v[2:3], -v[15:16], v[0:1], v[6:7]
	v_fma_f64 v[4:5], v[11:12], v[0:1], v[13:14]
	s_delay_alu instid0(VALU_DEP_4) | instskip(NEXT) | instid1(VALU_DEP_4)
	v_fma_f64 v[6:7], v[15:16], v[0:1], v[8:9]
	v_fma_f64 v[8:9], v[11:12], v[0:1], v[17:18]
	ds_store_b128 v52, v[2:5] offset:10560
	ds_store_b128 v10, v[6:9] offset:12672
.LBB0_19:
	s_or_b32 exec_lo, exec_lo, s1
	s_waitcnt lgkmcnt(0)
	s_barrier
	buffer_gl0_inv
	s_barrier
	buffer_gl0_inv
	ds_load_b128 v[4:7], v52
	ds_load_b128 v[32:35], v52 offset:2112
	ds_load_b128 v[0:3], v52 offset:21120
	ds_load_b128 v[36:39], v52 offset:4224
	ds_load_b128 v[40:43], v52 offset:6336
	ds_load_b128 v[28:31], v52 offset:8448
	ds_load_b128 v[24:27], v52 offset:10560
	ds_load_b128 v[20:23], v52 offset:12672
	ds_load_b128 v[16:19], v52 offset:14784
	ds_load_b128 v[12:15], v52 offset:16896
	ds_load_b128 v[8:11], v52 offset:19008
	s_mov_b32 s22, 0xf8bb580b
	s_mov_b32 s23, 0xbfe14ced
	;; [unrolled: 1-line block ×17, first 2 shown]
	s_waitcnt lgkmcnt(2)
	v_add_f64 v[69:70], v[28:29], v[16:17]
	v_add_f64 v[44:45], v[4:5], v[32:33]
	;; [unrolled: 1-line block ×3, first 2 shown]
	v_add_f64 v[53:54], v[34:35], -v[2:3]
	v_add_f64 v[55:56], v[32:33], -v[0:1]
	s_waitcnt lgkmcnt(1)
	v_add_f64 v[61:62], v[42:43], -v[14:15]
	v_add_f64 v[63:64], v[40:41], v[12:13]
	v_add_f64 v[65:66], v[42:43], v[14:15]
	v_add_f64 v[67:68], v[40:41], -v[12:13]
	s_waitcnt lgkmcnt(0)
	v_add_f64 v[57:58], v[38:39], -v[10:11]
	v_add_f64 v[59:60], v[36:37], -v[8:9]
	v_add_f64 v[32:33], v[32:33], v[0:1]
	v_add_f64 v[34:35], v[34:35], v[2:3]
	;; [unrolled: 1-line block ×3, first 2 shown]
	v_add_f64 v[73:74], v[28:29], -v[16:17]
	v_add_f64 v[75:76], v[30:31], -v[18:19]
	s_mov_b32 s20, 0x9bcd5057
	s_mov_b32 s29, 0x3fd207e7
	;; [unrolled: 1-line block ×9, first 2 shown]
	v_add_f64 v[77:78], v[24:25], v[20:21]
	v_add_f64 v[79:80], v[26:27], v[22:23]
	v_add_f64 v[81:82], v[24:25], -v[20:21]
	v_add_f64 v[83:84], v[26:27], -v[22:23]
	s_barrier
	buffer_gl0_inv
	v_add_f64 v[44:45], v[44:45], v[36:37]
	v_add_f64 v[46:47], v[46:47], v[38:39]
	v_mul_f64 v[85:86], v[53:54], s[22:23]
	v_mul_f64 v[87:88], v[55:56], s[22:23]
	;; [unrolled: 1-line block ×10, first 2 shown]
	v_add_f64 v[36:37], v[36:37], v[8:9]
	v_add_f64 v[38:39], v[38:39], v[10:11]
	v_mul_f64 v[107:108], v[59:60], s[16:17]
	v_mul_f64 v[101:102], v[57:58], s[28:29]
	;; [unrolled: 1-line block ×24, first 2 shown]
	v_add_f64 v[40:41], v[44:45], v[40:41]
	v_add_f64 v[42:43], v[46:47], v[42:43]
	v_mul_f64 v[44:45], v[57:58], s[10:11]
	v_mul_f64 v[46:47], v[57:58], s[16:17]
	v_fma_f64 v[155:156], v[32:33], s[0:1], -v[85:86]
	v_fma_f64 v[157:158], v[34:35], s[0:1], v[87:88]
	v_mul_f64 v[57:58], v[57:58], s[24:25]
	v_fma_f64 v[159:160], v[32:33], s[6:7], -v[93:94]
	v_fma_f64 v[161:162], v[34:35], s[6:7], v[95:96]
	v_fma_f64 v[93:94], v[32:33], s[6:7], v[93:94]
	v_fma_f64 v[163:164], v[32:33], s[12:13], -v[97:98]
	v_fma_f64 v[97:98], v[32:33], s[12:13], v[97:98]
	v_fma_f64 v[165:166], v[32:33], s[20:21], -v[53:54]
	;; [unrolled: 2-line block ×3, first 2 shown]
	s_mov_b32 s11, 0x3fed1bb4
	v_fma_f64 v[177:178], v[38:39], s[12:13], v[107:108]
	v_mul_f64 v[61:62], v[61:62], s[10:11]
	v_mul_f64 v[67:68], v[67:68], s[10:11]
	v_fma_f64 v[171:172], v[36:37], s[20:21], -v[101:102]
	v_fma_f64 v[101:102], v[36:37], s[20:21], v[101:102]
	v_fma_f64 v[173:174], v[36:37], s[6:7], -v[103:104]
	v_fma_f64 v[103:104], v[36:37], s[6:7], v[103:104]
	v_fma_f64 v[179:180], v[38:39], s[20:21], v[109:110]
	;; [unrolled: 1-line block ×3, first 2 shown]
	v_fma_f64 v[111:112], v[38:39], s[6:7], -v[111:112]
	v_fma_f64 v[109:110], v[38:39], s[20:21], -v[109:110]
	;; [unrolled: 1-line block ×4, first 2 shown]
	v_fma_f64 v[117:118], v[63:64], s[0:1], v[117:118]
	v_fma_f64 v[185:186], v[63:64], s[12:13], -v[119:120]
	v_fma_f64 v[119:120], v[63:64], s[12:13], v[119:120]
	v_fma_f64 v[187:188], v[65:66], s[6:7], v[121:122]
	v_fma_f64 v[121:122], v[65:66], s[6:7], -v[121:122]
	v_mul_f64 v[147:148], v[83:84], s[24:25]
	v_mul_f64 v[75:76], v[75:76], s[10:11]
	;; [unrolled: 1-line block ×4, first 2 shown]
	v_add_f64 v[28:29], v[40:41], v[28:29]
	v_add_f64 v[30:31], v[42:43], v[30:31]
	v_fma_f64 v[40:41], v[32:33], s[0:1], v[85:86]
	v_fma_f64 v[42:43], v[34:35], s[0:1], -v[87:88]
	v_fma_f64 v[85:86], v[32:33], s[2:3], -v[89:90]
	v_fma_f64 v[87:88], v[34:35], s[2:3], v[91:92]
	v_fma_f64 v[89:90], v[32:33], s[2:3], v[89:90]
	;; [unrolled: 1-line block ×4, first 2 shown]
	v_fma_f64 v[91:92], v[34:35], s[2:3], -v[91:92]
	v_fma_f64 v[99:100], v[34:35], s[12:13], -v[99:100]
	;; [unrolled: 1-line block ×5, first 2 shown]
	v_add_f64 v[155:156], v[4:5], v[155:156]
	v_fma_f64 v[44:45], v[36:37], s[2:3], v[44:45]
	v_fma_f64 v[46:47], v[36:37], s[12:13], v[46:47]
	v_fma_f64 v[175:176], v[36:37], s[0:1], -v[57:58]
	v_fma_f64 v[36:37], v[36:37], s[0:1], v[57:58]
	v_fma_f64 v[57:58], v[38:39], s[2:3], v[105:106]
	v_fma_f64 v[105:106], v[38:39], s[2:3], -v[105:106]
	v_add_f64 v[159:160], v[4:5], v[159:160]
	v_add_f64 v[161:162], v[6:7], v[161:162]
	;; [unrolled: 1-line block ×9, first 2 shown]
	v_mul_f64 v[149:150], v[83:84], s[16:17]
	v_mul_f64 v[151:152], v[83:84], s[14:15]
	;; [unrolled: 1-line block ×3, first 2 shown]
	v_add_f64 v[24:25], v[28:29], v[24:25]
	v_add_f64 v[26:27], v[30:31], v[26:27]
	;; [unrolled: 1-line block ×6, first 2 shown]
	v_fma_f64 v[28:29], v[38:39], s[0:1], v[59:60]
	v_fma_f64 v[30:31], v[38:39], s[0:1], -v[59:60]
	v_add_f64 v[53:54], v[6:7], v[53:54]
	v_add_f64 v[89:90], v[4:5], v[89:90]
	;; [unrolled: 1-line block ×6, first 2 shown]
	v_fma_f64 v[38:39], v[63:64], s[6:7], -v[113:114]
	v_fma_f64 v[59:60], v[63:64], s[6:7], v[113:114]
	v_fma_f64 v[113:114], v[63:64], s[20:21], -v[115:116]
	v_fma_f64 v[32:33], v[65:66], s[20:21], v[123:124]
	v_add_f64 v[55:56], v[55:56], v[155:156]
	v_fma_f64 v[115:116], v[63:64], s[20:21], v[115:116]
	v_fma_f64 v[34:35], v[65:66], s[20:21], -v[123:124]
	v_add_f64 v[159:160], v[171:172], v[159:160]
	v_add_f64 v[161:162], v[179:180], v[161:162]
	v_fma_f64 v[123:124], v[65:66], s[0:1], v[125:126]
	v_add_f64 v[93:94], v[101:102], v[93:94]
	v_add_f64 v[101:102], v[173:174], v[163:164]
	;; [unrolled: 1-line block ×4, first 2 shown]
	v_fma_f64 v[125:126], v[65:66], s[0:1], -v[125:126]
	v_mul_f64 v[155:156], v[81:82], s[14:15]
	v_add_f64 v[20:21], v[24:25], v[20:21]
	v_add_f64 v[22:23], v[26:27], v[22:23]
	v_fma_f64 v[24:25], v[65:66], s[12:13], v[127:128]
	v_fma_f64 v[26:27], v[65:66], s[12:13], -v[127:128]
	v_add_f64 v[85:86], v[169:170], v[85:86]
	v_add_f64 v[87:88], v[177:178], v[87:88]
	v_fma_f64 v[127:128], v[63:64], s[2:3], -v[61:62]
	v_fma_f64 v[61:62], v[63:64], s[2:3], v[61:62]
	v_fma_f64 v[63:64], v[65:66], s[2:3], v[67:68]
	v_add_f64 v[40:41], v[44:45], v[40:41]
	v_add_f64 v[42:43], v[105:106], v[42:43]
	;; [unrolled: 1-line block ×7, first 2 shown]
	v_fma_f64 v[65:66], v[65:66], s[2:3], -v[67:68]
	v_add_f64 v[36:37], v[109:110], v[95:96]
	v_add_f64 v[46:47], v[46:47], v[89:90]
	;; [unrolled: 1-line block ×3, first 2 shown]
	v_fma_f64 v[169:170], v[69:70], s[6:7], -v[131:132]
	v_fma_f64 v[95:96], v[71:72], s[6:7], v[139:140]
	v_add_f64 v[38:39], v[38:39], v[55:56]
	v_mul_f64 v[67:68], v[81:82], s[16:17]
	v_fma_f64 v[177:178], v[69:70], s[0:1], -v[133:134]
	v_fma_f64 v[107:108], v[71:72], s[0:1], v[141:142]
	v_mul_f64 v[44:45], v[81:82], s[18:19]
	v_mul_f64 v[81:82], v[81:82], s[10:11]
	v_fma_f64 v[105:106], v[69:70], s[12:13], -v[129:130]
	v_fma_f64 v[129:130], v[69:70], s[12:13], v[129:130]
	v_fma_f64 v[131:132], v[69:70], s[6:7], v[131:132]
	;; [unrolled: 1-line block ×3, first 2 shown]
	v_fma_f64 v[89:90], v[69:70], s[20:21], -v[135:136]
	v_fma_f64 v[135:136], v[69:70], s[20:21], v[135:136]
	v_fma_f64 v[99:100], v[71:72], s[6:7], -v[139:140]
	v_fma_f64 v[109:110], v[71:72], s[0:1], -v[141:142]
	v_fma_f64 v[111:112], v[71:72], s[20:21], v[143:144]
	v_fma_f64 v[139:140], v[77:78], s[20:21], -v[145:146]
	v_add_f64 v[16:17], v[20:21], v[16:17]
	v_add_f64 v[18:19], v[22:23], v[18:19]
	v_add_f64 v[20:21], v[57:58], v[157:158]
	v_fma_f64 v[57:58], v[71:72], s[12:13], -v[137:138]
	v_add_f64 v[55:56], v[113:114], v[85:86]
	v_add_f64 v[32:33], v[32:33], v[87:88]
	v_fma_f64 v[22:23], v[71:72], s[12:13], v[137:138]
	v_fma_f64 v[137:138], v[71:72], s[20:21], -v[143:144]
	v_add_f64 v[63:64], v[63:64], v[161:162]
	v_add_f64 v[40:41], v[59:60], v[40:41]
	;; [unrolled: 1-line block ×4, first 2 shown]
	v_fma_f64 v[141:142], v[77:78], s[20:21], v[145:146]
	v_fma_f64 v[143:144], v[77:78], s[0:1], -v[147:148]
	v_fma_f64 v[145:146], v[77:78], s[0:1], v[147:148]
	v_fma_f64 v[147:148], v[69:70], s[2:3], -v[75:76]
	v_fma_f64 v[69:70], v[69:70], s[2:3], v[75:76]
	v_fma_f64 v[75:76], v[71:72], s[2:3], v[73:74]
	v_fma_f64 v[71:72], v[71:72], s[2:3], -v[73:74]
	v_add_f64 v[73:74], v[183:184], v[101:102]
	v_add_f64 v[53:54], v[123:124], v[53:54]
	;; [unrolled: 1-line block ×12, first 2 shown]
	v_fma_f64 v[91:92], v[79:80], s[0:1], v[153:154]
	v_fma_f64 v[97:98], v[79:80], s[12:13], v[67:68]
	;; [unrolled: 1-line block ×3, first 2 shown]
	v_fma_f64 v[36:37], v[77:78], s[6:7], -v[151:152]
	v_fma_f64 v[65:66], v[77:78], s[6:7], v[151:152]
	v_fma_f64 v[113:114], v[77:78], s[2:3], -v[83:84]
	v_fma_f64 v[93:94], v[79:80], s[0:1], -v[153:154]
	v_add_f64 v[12:13], v[16:17], v[12:13]
	v_add_f64 v[14:15], v[18:19], v[14:15]
	;; [unrolled: 1-line block ×3, first 2 shown]
	v_fma_f64 v[20:21], v[77:78], s[12:13], -v[149:150]
	v_add_f64 v[55:56], v[169:170], v[55:56]
	v_add_f64 v[32:33], v[95:96], v[32:33]
	v_fma_f64 v[77:78], v[77:78], s[2:3], v[83:84]
	v_fma_f64 v[83:84], v[79:80], s[2:3], v[81:82]
	v_fma_f64 v[67:68], v[79:80], s[12:13], -v[67:68]
	v_fma_f64 v[101:102], v[79:80], s[6:7], v[155:156]
	v_add_f64 v[42:43], v[57:58], v[42:43]
	v_add_f64 v[57:58], v[177:178], v[59:60]
	;; [unrolled: 1-line block ×3, first 2 shown]
	v_fma_f64 v[103:104], v[79:80], s[6:7], -v[155:156]
	v_fma_f64 v[18:19], v[79:80], s[20:21], -v[44:45]
	v_fma_f64 v[44:45], v[79:80], s[20:21], v[44:45]
	v_fma_f64 v[79:80], v[79:80], s[2:3], -v[81:82]
	v_add_f64 v[38:39], v[105:106], v[38:39]
	v_add_f64 v[40:41], v[129:130], v[40:41]
	;; [unrolled: 1-line block ×14, first 2 shown]
	v_cmp_gt_u32_e64 s0, 0x58, v48
	v_add_f64 v[87:88], v[12:13], v[8:9]
	v_add_f64 v[10:11], v[14:15], v[10:11]
	;; [unrolled: 1-line block ×22, first 2 shown]
                                        ; implicit-def: $vgpr46_vgpr47
	v_add_f64 v[0:1], v[87:88], v[0:1]
	v_add_f64 v[2:3], v[10:11], v[2:3]
	;; [unrolled: 1-line block ×3, first 2 shown]
	v_mad_u32_u24 v44, 0xa0, v48, v52
	ds_store_b128 v44, v[12:15] offset:32
	ds_store_b128 v44, v[20:23] offset:48
	;; [unrolled: 1-line block ×9, first 2 shown]
	ds_store_b128 v44, v[0:3]
	ds_store_b128 v44, v[8:11] offset:16
	s_waitcnt lgkmcnt(0)
	s_barrier
	buffer_gl0_inv
	ds_load_b128 v[0:3], v52
	ds_load_b128 v[12:15], v52 offset:2112
	ds_load_b128 v[20:23], v52 offset:15488
	;; [unrolled: 1-line block ×8, first 2 shown]
	s_and_saveexec_b32 s1, s0
	s_cbranch_execz .LBB0_21
; %bb.20:
	ds_load_b128 v[4:7], v52 offset:6336
	ds_load_b128 v[16:19], v52 offset:14080
	;; [unrolled: 1-line block ×3, first 2 shown]
.LBB0_21:
	s_or_b32 exec_lo, exec_lo, s1
	v_and_b32_e32 v53, 0xff, v48
	v_add_nc_u32_e32 v55, 0x84, v48
	v_add_nc_u32_e32 v58, 0x18c, v48
	s_mov_b32 s2, 0xe8584caa
	s_mov_b32 s3, 0x3febb67a
	v_mul_lo_u16 v49, 0x75, v53
	v_and_b32_e32 v57, 0xffff, v55
	s_mov_b32 s7, 0xbfebb67a
	s_mov_b32 s6, s2
	s_delay_alu instid0(VALU_DEP_2) | instskip(NEXT) | instid1(VALU_DEP_2)
	v_lshrrev_b16 v54, 8, v49
	v_mul_u32_u24_e32 v57, 0xba2f, v57
	s_delay_alu instid0(VALU_DEP_2) | instskip(NEXT) | instid1(VALU_DEP_2)
	v_sub_nc_u16 v49, v48, v54
	v_lshrrev_b32_e32 v104, 19, v57
	s_delay_alu instid0(VALU_DEP_2) | instskip(SKIP_1) | instid1(VALU_DEP_2)
	v_lshrrev_b16 v56, 1, v49
	v_add_nc_u32_e32 v49, 0x108, v48
	v_and_b32_e32 v56, 0x7f, v56
	s_delay_alu instid0(VALU_DEP_2) | instskip(NEXT) | instid1(VALU_DEP_2)
	v_and_b32_e32 v59, 0xffff, v49
	v_add_nc_u16 v54, v56, v54
	v_and_b32_e32 v56, 0xffff, v58
	s_delay_alu instid0(VALU_DEP_3) | instskip(NEXT) | instid1(VALU_DEP_3)
	v_mul_u32_u24_e32 v57, 0xba2f, v59
	v_lshrrev_b16 v105, 3, v54
	v_mul_lo_u16 v54, v104, 11
	s_delay_alu instid0(VALU_DEP_4) | instskip(NEXT) | instid1(VALU_DEP_4)
	v_mul_u32_u24_e32 v56, 0xba2f, v56
	v_lshrrev_b32_e32 v106, 19, v57
	s_delay_alu instid0(VALU_DEP_4) | instskip(NEXT) | instid1(VALU_DEP_4)
	v_mul_lo_u16 v57, v105, 11
	v_sub_nc_u16 v55, v55, v54
	s_delay_alu instid0(VALU_DEP_4) | instskip(NEXT) | instid1(VALU_DEP_4)
	v_lshrrev_b32_e32 v54, 19, v56
	v_mul_lo_u16 v56, v106, 11
	s_delay_alu instid0(VALU_DEP_4) | instskip(NEXT) | instid1(VALU_DEP_4)
	v_sub_nc_u16 v57, v48, v57
	v_and_b32_e32 v107, 0xffff, v55
	s_delay_alu instid0(VALU_DEP_4) | instskip(NEXT) | instid1(VALU_DEP_4)
	v_mul_lo_u16 v55, v54, 11
	v_sub_nc_u16 v56, v49, v56
	s_delay_alu instid0(VALU_DEP_4) | instskip(NEXT) | instid1(VALU_DEP_4)
	v_and_b32_e32 v108, 0xff, v57
	v_lshlrev_b32_e32 v60, 5, v107
	s_delay_alu instid0(VALU_DEP_4) | instskip(NEXT) | instid1(VALU_DEP_4)
	v_sub_nc_u16 v55, v58, v55
	v_and_b32_e32 v109, 0xffff, v56
	s_clause 0x1
	global_load_b128 v[56:59], v60, s[4:5]
	global_load_b128 v[60:63], v60, s[4:5] offset:16
	v_and_b32_e32 v55, 0xffff, v55
	v_lshlrev_b32_e32 v68, 5, v108
	v_lshlrev_b32_e32 v76, 5, v109
	s_clause 0x1
	global_load_b128 v[64:67], v68, s[4:5]
	global_load_b128 v[68:71], v68, s[4:5] offset:16
	v_lshlrev_b32_e32 v84, 5, v55
	s_clause 0x3
	global_load_b128 v[72:75], v76, s[4:5]
	global_load_b128 v[76:79], v76, s[4:5] offset:16
	global_load_b128 v[80:83], v84, s[4:5]
	global_load_b128 v[84:87], v84, s[4:5] offset:16
	s_waitcnt vmcnt(0) lgkmcnt(0)
	s_barrier
	buffer_gl0_inv
	v_mul_f64 v[88:89], v[42:43], v[58:59]
	v_mul_f64 v[58:59], v[40:41], v[58:59]
	;; [unrolled: 1-line block ×16, first 2 shown]
	v_fma_f64 v[40:41], v[40:41], v[56:57], -v[88:89]
	v_fma_f64 v[42:43], v[42:43], v[56:57], v[58:59]
	v_fma_f64 v[36:37], v[36:37], v[60:61], -v[90:91]
	v_fma_f64 v[38:39], v[38:39], v[60:61], v[62:63]
	v_fma_f64 v[28:29], v[28:29], v[64:65], -v[92:93]
	v_fma_f64 v[56:57], v[20:21], v[68:69], -v[94:95]
	v_fma_f64 v[30:31], v[30:31], v[64:65], v[66:67]
	v_fma_f64 v[58:59], v[22:23], v[68:69], v[70:71]
	v_fma_f64 v[32:33], v[32:33], v[72:73], -v[96:97]
	v_fma_f64 v[34:35], v[34:35], v[72:73], v[74:75]
	v_fma_f64 v[60:61], v[24:25], v[76:77], -v[98:99]
	;; [unrolled: 2-line block ×4, first 2 shown]
	v_fma_f64 v[18:19], v[46:47], v[84:85], v[86:87]
	v_add_f64 v[72:73], v[12:13], v[40:41]
	v_add_f64 v[24:25], v[40:41], v[36:37]
	;; [unrolled: 1-line block ×3, first 2 shown]
	v_add_f64 v[74:75], v[42:43], -v[38:39]
	v_add_f64 v[42:43], v[14:15], v[42:43]
	v_add_f64 v[76:77], v[40:41], -v[36:37]
	v_add_f64 v[80:81], v[0:1], v[28:29]
	v_add_f64 v[44:45], v[28:29], v[56:57]
	;; [unrolled: 1-line block ×8, first 2 shown]
	v_add_f64 v[86:87], v[30:31], -v[58:59]
	v_add_f64 v[90:91], v[28:29], -v[56:57]
	v_add_f64 v[68:69], v[20:21], v[16:17]
	v_add_f64 v[70:71], v[22:23], v[18:19]
	v_add_f64 v[92:93], v[34:35], -v[62:63]
	v_add_f64 v[94:95], v[32:33], -v[60:61]
	v_fma_f64 v[84:85], v[24:25], -0.5, v[12:13]
	v_fma_f64 v[88:89], v[26:27], -0.5, v[14:15]
	v_add_f64 v[12:13], v[22:23], -v[18:19]
	v_add_f64 v[14:15], v[20:21], -v[16:17]
	v_add_f64 v[24:25], v[72:73], v[36:37]
	v_add_f64 v[32:33], v[80:81], v[56:57]
	v_fma_f64 v[0:1], v[44:45], -0.5, v[0:1]
	v_add_f64 v[34:35], v[82:83], v[58:59]
	v_fma_f64 v[2:3], v[46:47], -0.5, v[2:3]
	v_add_f64 v[26:27], v[42:43], v[38:39]
	v_add_f64 v[28:29], v[40:41], v[60:61]
	v_fma_f64 v[64:65], v[64:65], -0.5, v[8:9]
	v_fma_f64 v[66:67], v[66:67], -0.5, v[10:11]
	v_add_f64 v[30:31], v[78:79], v[62:63]
	v_lshlrev_b32_e32 v72, 4, v108
	v_fma_f64 v[8:9], v[68:69], -0.5, v[4:5]
	v_fma_f64 v[10:11], v[70:71], -0.5, v[6:7]
	v_and_b32_e32 v68, 0xffff, v105
	v_mul_u32_u24_e32 v69, 0x210, v104
	v_lshlrev_b32_e32 v71, 4, v107
	v_mul_u32_u24_e32 v70, 0x210, v106
	v_lshlrev_b32_e32 v73, 4, v109
	v_mul_u32_u24_e32 v68, 0x210, v68
	s_delay_alu instid0(VALU_DEP_4) | instskip(NEXT) | instid1(VALU_DEP_3)
	v_add3_u32 v69, 0, v69, v71
	v_add3_u32 v70, 0, v70, v73
	s_delay_alu instid0(VALU_DEP_3)
	v_add3_u32 v68, 0, v68, v72
	v_fma_f64 v[36:37], v[74:75], s[2:3], v[84:85]
	v_fma_f64 v[38:39], v[76:77], s[6:7], v[88:89]
	;; [unrolled: 1-line block ×14, first 2 shown]
	ds_store_b128 v68, v[32:35]
	ds_store_b128 v68, v[44:47] offset:176
	ds_store_b128 v68, v[56:59] offset:352
	ds_store_b128 v69, v[24:27]
	ds_store_b128 v69, v[36:39] offset:176
	ds_store_b128 v69, v[40:43] offset:352
	;; [unrolled: 3-line block ×3, first 2 shown]
	s_and_saveexec_b32 s1, s0
	s_cbranch_execz .LBB0_23
; %bb.22:
	v_mul_f64 v[14:15], v[14:15], s[2:3]
	v_add_f64 v[22:23], v[6:7], v[22:23]
	v_add_f64 v[4:5], v[4:5], v[20:21]
	v_mul_f64 v[20:21], v[12:13], s[2:3]
	s_delay_alu instid0(VALU_DEP_4) | instskip(NEXT) | instid1(VALU_DEP_4)
	v_add_f64 v[6:7], v[10:11], -v[14:15]
	v_add_f64 v[12:13], v[22:23], v[18:19]
	s_delay_alu instid0(VALU_DEP_4) | instskip(NEXT) | instid1(VALU_DEP_4)
	v_add_f64 v[10:11], v[4:5], v[16:17]
	v_add_f64 v[4:5], v[20:21], v[8:9]
	v_mul_lo_u16 v8, v54, 33
	v_lshlrev_b32_e32 v9, 4, v55
	s_delay_alu instid0(VALU_DEP_2) | instskip(NEXT) | instid1(VALU_DEP_1)
	v_and_b32_e32 v8, 0xffff, v8
	v_lshlrev_b32_e32 v8, 4, v8
	s_delay_alu instid0(VALU_DEP_1)
	v_add3_u32 v8, 0, v9, v8
	ds_store_b128 v8, v[10:13]
	ds_store_b128 v8, v[4:7] offset:176
	ds_store_b128 v8, v[0:3] offset:352
.LBB0_23:
	s_or_b32 exec_lo, exec_lo, s1
	v_mul_lo_u16 v4, 0xf9, v53
	s_waitcnt lgkmcnt(0)
	s_barrier
	buffer_gl0_inv
	s_mov_b32 s16, 0xf8bb580b
	v_lshrrev_b16 v32, 13, v4
	s_mov_b32 s17, 0xbfe14ced
	s_mov_b32 s3, 0xbfed1bb4
	s_mov_b32 s2, 0x8eee2c13
	s_mov_b32 s18, 0x43842ef
	v_mul_lo_u16 v4, v32, 33
	s_mov_b32 s19, 0xbfefac9e
	s_mov_b32 s20, 0xbb3a28a1
	;; [unrolled: 1-line block ×4, first 2 shown]
	v_sub_nc_u16 v4, v48, v4
	s_mov_b32 s25, 0xbfd207e7
	s_mov_b32 s0, 0x8764f0ba
	;; [unrolled: 1-line block ×4, first 2 shown]
	v_and_b32_e32 v33, 0xff, v4
	s_mov_b32 s7, 0x3fda9628
	s_mov_b32 s10, 0x640f44db
	;; [unrolled: 1-line block ×4, first 2 shown]
	v_mul_u32_u24_e32 v4, 10, v33
	s_mov_b32 s14, 0x9bcd5057
	s_mov_b32 s26, s18
	;; [unrolled: 1-line block ×4, first 2 shown]
	v_lshlrev_b32_e32 v4, 4, v4
	s_mov_b32 s22, s16
	s_clause 0x9
	global_load_b128 v[8:11], v4, s[4:5] offset:352
	global_load_b128 v[12:15], v4, s[4:5] offset:496
	;; [unrolled: 1-line block ×10, first 2 shown]
	ds_load_b128 v[16:19], v52 offset:2112
	ds_load_b128 v[4:7], v52
	ds_load_b128 v[61:64], v52 offset:21120
	ds_load_b128 v[65:68], v52 offset:4224
	;; [unrolled: 1-line block ×9, first 2 shown]
	s_waitcnt vmcnt(0) lgkmcnt(0)
	s_barrier
	buffer_gl0_inv
	v_mul_f64 v[46:47], v[18:19], v[10:11]
	v_mul_f64 v[10:11], v[16:17], v[10:11]
	v_mul_f64 v[97:98], v[61:62], v[14:15]
	v_mul_f64 v[14:15], v[63:64], v[14:15]
	v_mul_f64 v[99:100], v[67:68], v[22:23]
	v_mul_f64 v[22:23], v[65:66], v[22:23]
	v_mul_f64 v[101:102], v[69:70], v[26:27]
	v_mul_f64 v[26:27], v[71:72], v[26:27]
	v_mul_f64 v[105:106], v[75:76], v[30:31]
	v_mul_f64 v[30:31], v[73:74], v[30:31]
	v_mul_f64 v[107:108], v[77:78], v[36:37]
	v_mul_f64 v[36:37], v[79:80], v[36:37]
	v_mul_f64 v[115:116], v[95:96], v[59:60]
	v_mul_f64 v[59:60], v[93:94], v[59:60]
	v_mul_f64 v[111:112], v[91:92], v[44:45]
	v_mul_f64 v[44:45], v[89:90], v[44:45]
	v_mul_f64 v[109:110], v[83:84], v[40:41]
	v_mul_f64 v[40:41], v[81:82], v[40:41]
	v_mul_f64 v[113:114], v[87:88], v[55:56]
	v_mul_f64 v[55:56], v[85:86], v[55:56]
	v_fma_f64 v[46:47], v[16:17], v[8:9], -v[46:47]
	v_fma_f64 v[103:104], v[18:19], v[8:9], v[10:11]
	v_fma_f64 v[16:17], v[63:64], v[12:13], v[97:98]
	v_fma_f64 v[18:19], v[61:62], v[12:13], -v[14:15]
	v_fma_f64 v[61:62], v[65:66], v[20:21], -v[99:100]
	v_fma_f64 v[63:64], v[67:68], v[20:21], v[22:23]
	v_fma_f64 v[8:9], v[71:72], v[24:25], v[101:102]
	v_fma_f64 v[10:11], v[69:70], v[24:25], -v[26:27]
	;; [unrolled: 4-line block ×3, first 2 shown]
	v_fma_f64 v[30:31], v[93:94], v[57:58], -v[115:116]
	v_fma_f64 v[28:29], v[95:96], v[57:58], v[59:60]
	v_fma_f64 v[20:21], v[89:90], v[42:43], -v[111:112]
	v_fma_f64 v[22:23], v[91:92], v[42:43], v[44:45]
	;; [unrolled: 2-line block ×4, first 2 shown]
	v_add_f64 v[65:66], v[4:5], v[46:47]
	v_add_f64 v[67:68], v[6:7], v[103:104]
	v_add_f64 v[42:43], v[103:104], -v[16:17]
	v_add_f64 v[44:45], v[46:47], -v[18:19]
	v_add_f64 v[46:47], v[46:47], v[18:19]
	v_add_f64 v[69:70], v[103:104], v[16:17]
	v_add_f64 v[53:54], v[63:64], -v[8:9]
	v_add_f64 v[55:56], v[61:62], -v[10:11]
	v_add_f64 v[73:74], v[24:25], v[12:13]
	v_add_f64 v[71:72], v[26:27], v[14:15]
	;; [unrolled: 1-line block ×3, first 2 shown]
	v_add_f64 v[79:80], v[34:35], -v[20:21]
	v_add_f64 v[75:76], v[36:37], -v[22:23]
	v_add_f64 v[85:86], v[36:37], v[22:23]
	v_add_f64 v[81:82], v[40:41], -v[28:29]
	v_add_f64 v[83:84], v[38:39], -v[30:31]
	v_add_f64 v[89:90], v[40:41], v[28:29]
	v_add_f64 v[87:88], v[38:39], v[30:31]
	;; [unrolled: 1-line block ×4, first 2 shown]
	v_add_f64 v[65:66], v[24:25], -v[12:13]
	v_add_f64 v[67:68], v[26:27], -v[14:15]
	v_mul_f64 v[91:92], v[42:43], s[16:17]
	v_mul_f64 v[93:94], v[44:45], s[16:17]
	;; [unrolled: 1-line block ×10, first 2 shown]
	v_add_f64 v[61:62], v[61:62], v[10:11]
	v_add_f64 v[63:64], v[63:64], v[8:9]
	v_mul_f64 v[107:108], v[53:54], s[2:3]
	v_mul_f64 v[109:110], v[55:56], s[2:3]
	;; [unrolled: 1-line block ×6, first 2 shown]
	s_mov_b32 s3, 0x3fed1bb4
	v_mul_f64 v[135:136], v[75:76], s[20:21]
	v_mul_f64 v[137:138], v[75:76], s[26:27]
	;; [unrolled: 1-line block ×12, first 2 shown]
	v_add_f64 v[26:27], v[57:58], v[26:27]
	v_add_f64 v[24:25], v[59:60], v[24:25]
	v_mul_f64 v[123:124], v[65:66], s[28:29]
	v_mul_f64 v[57:58], v[53:54], s[28:29]
	v_fma_f64 v[155:156], v[46:47], s[0:1], -v[91:92]
	v_fma_f64 v[157:158], v[69:70], s[0:1], v[93:94]
	v_fma_f64 v[91:92], v[46:47], s[0:1], v[91:92]
	v_fma_f64 v[93:94], v[69:70], s[0:1], -v[93:94]
	v_fma_f64 v[159:160], v[46:47], s[6:7], -v[95:96]
	v_fma_f64 v[161:162], v[69:70], s[6:7], v[97:98]
	v_mul_f64 v[59:60], v[55:56], s[28:29]
	v_fma_f64 v[163:164], v[46:47], s[10:11], -v[99:100]
	v_fma_f64 v[165:166], v[69:70], s[12:13], v[105:106]
	v_mul_f64 v[53:54], v[53:54], s[22:23]
	v_mul_f64 v[55:56], v[55:56], s[22:23]
	v_fma_f64 v[95:96], v[46:47], s[6:7], v[95:96]
	v_fma_f64 v[167:168], v[46:47], s[14:15], -v[42:43]
	v_fma_f64 v[169:170], v[69:70], s[14:15], v[44:45]
	v_fma_f64 v[97:98], v[69:70], s[6:7], -v[97:98]
	v_fma_f64 v[105:106], v[69:70], s[12:13], -v[105:106]
	v_fma_f64 v[42:43], v[46:47], s[14:15], v[42:43]
	v_fma_f64 v[44:45], v[69:70], s[14:15], -v[44:45]
	v_mul_f64 v[119:120], v[65:66], s[18:19]
	v_mul_f64 v[121:122], v[67:68], s[18:19]
	;; [unrolled: 1-line block ×3, first 2 shown]
	v_fma_f64 v[171:172], v[61:62], s[12:13], -v[111:112]
	v_fma_f64 v[173:174], v[63:64], s[12:13], v[113:114]
	v_mul_f64 v[127:128], v[65:66], s[16:17]
	v_mul_f64 v[129:130], v[67:68], s[16:17]
	;; [unrolled: 1-line block ×6, first 2 shown]
	v_fma_f64 v[179:180], v[61:62], s[10:11], -v[115:116]
	v_fma_f64 v[181:182], v[63:64], s[10:11], v[117:118]
	v_fma_f64 v[111:112], v[61:62], s[12:13], v[111:112]
	;; [unrolled: 1-line block ×3, first 2 shown]
	v_fma_f64 v[117:118], v[63:64], s[10:11], -v[117:118]
	v_add_f64 v[26:27], v[26:27], v[34:35]
	v_add_f64 v[24:25], v[24:25], v[36:37]
	v_fma_f64 v[34:35], v[69:70], s[10:11], v[101:102]
	v_fma_f64 v[36:37], v[46:47], s[10:11], v[99:100]
	v_fma_f64 v[99:100], v[69:70], s[10:11], -v[101:102]
	v_fma_f64 v[101:102], v[46:47], s[12:13], -v[103:104]
	v_fma_f64 v[103:104], v[46:47], s[12:13], v[103:104]
	v_fma_f64 v[46:47], v[61:62], s[6:7], -v[107:108]
	v_fma_f64 v[69:70], v[63:64], s[6:7], v[109:110]
	v_fma_f64 v[107:108], v[61:62], s[6:7], v[107:108]
	v_fma_f64 v[109:110], v[63:64], s[6:7], -v[109:110]
	v_fma_f64 v[187:188], v[71:72], s[14:15], -v[123:124]
	v_add_f64 v[91:92], v[4:5], v[91:92]
	v_add_f64 v[93:94], v[6:7], v[93:94]
	;; [unrolled: 1-line block ×4, first 2 shown]
	v_fma_f64 v[175:176], v[61:62], s[14:15], -v[57:58]
	v_fma_f64 v[177:178], v[63:64], s[14:15], v[59:60]
	v_add_f64 v[163:164], v[4:5], v[163:164]
	v_fma_f64 v[57:58], v[61:62], s[14:15], v[57:58]
	v_add_f64 v[165:166], v[6:7], v[165:166]
	v_fma_f64 v[183:184], v[61:62], s[0:1], -v[53:54]
	v_fma_f64 v[185:186], v[63:64], s[0:1], v[55:56]
	v_add_f64 v[95:96], v[4:5], v[95:96]
	v_add_f64 v[167:168], v[4:5], v[167:168]
	;; [unrolled: 1-line block ×3, first 2 shown]
	v_fma_f64 v[53:54], v[61:62], s[0:1], v[53:54]
	v_fma_f64 v[55:56], v[63:64], s[0:1], -v[55:56]
	v_add_f64 v[157:158], v[6:7], v[157:158]
	v_add_f64 v[97:98], v[6:7], v[97:98]
	;; [unrolled: 1-line block ×3, first 2 shown]
	v_fma_f64 v[59:60], v[63:64], s[14:15], -v[59:60]
	v_fma_f64 v[113:114], v[63:64], s[12:13], -v[113:114]
	v_fma_f64 v[61:62], v[71:72], s[10:11], -v[119:120]
	v_fma_f64 v[63:64], v[73:74], s[10:11], v[121:122]
	v_fma_f64 v[119:120], v[71:72], s[10:11], v[119:120]
	v_fma_f64 v[121:122], v[73:74], s[10:11], -v[121:122]
	v_fma_f64 v[191:192], v[71:72], s[12:13], -v[131:132]
	v_add_f64 v[26:27], v[26:27], v[38:39]
	v_add_f64 v[24:25], v[24:25], v[40:41]
	v_fma_f64 v[40:41], v[71:72], s[14:15], v[123:124]
	v_add_f64 v[123:124], v[4:5], v[155:156]
	v_add_f64 v[34:35], v[6:7], v[34:35]
	;; [unrolled: 1-line block ×8, first 2 shown]
	v_fma_f64 v[38:39], v[73:74], s[14:15], v[125:126]
	v_add_f64 v[91:92], v[107:108], v[91:92]
	v_add_f64 v[93:94], v[109:110], v[93:94]
	;; [unrolled: 1-line block ×4, first 2 shown]
	v_fma_f64 v[155:156], v[71:72], s[0:1], -v[127:128]
	v_fma_f64 v[127:128], v[71:72], s[0:1], v[127:128]
	v_fma_f64 v[131:132], v[71:72], s[12:13], v[131:132]
	;; [unrolled: 1-line block ×3, first 2 shown]
	v_fma_f64 v[44:45], v[73:74], s[12:13], -v[133:134]
	v_fma_f64 v[133:134], v[71:72], s[6:7], -v[65:66]
	v_fma_f64 v[65:66], v[71:72], s[6:7], v[65:66]
	v_fma_f64 v[71:72], v[73:74], s[6:7], v[67:68]
	v_add_f64 v[163:164], v[175:176], v[163:164]
	v_fma_f64 v[189:190], v[73:74], s[0:1], v[129:130]
	v_add_f64 v[95:96], v[111:112], v[95:96]
	v_fma_f64 v[129:130], v[73:74], s[0:1], -v[129:130]
	v_fma_f64 v[67:68], v[73:74], s[6:7], -v[67:68]
	;; [unrolled: 1-line block ×3, first 2 shown]
	v_add_f64 v[69:70], v[69:70], v[157:158]
	v_mul_f64 v[73:74], v[81:82], s[22:23]
	v_fma_f64 v[171:172], v[77:78], s[12:13], -v[135:136]
	v_fma_f64 v[135:136], v[77:78], s[12:13], v[135:136]
	v_fma_f64 v[173:174], v[77:78], s[10:11], -v[137:138]
	v_fma_f64 v[137:138], v[77:78], s[10:11], v[137:138]
	;; [unrolled: 2-line block ×3, first 2 shown]
	v_add_f64 v[26:27], v[26:27], v[30:31]
	v_add_f64 v[24:25], v[24:25], v[28:29]
	v_mul_f64 v[30:31], v[83:84], s[22:23]
	v_add_f64 v[46:47], v[46:47], v[123:124]
	v_add_f64 v[34:35], v[177:178], v[34:35]
	;; [unrolled: 1-line block ×13, first 2 shown]
	v_fma_f64 v[175:176], v[77:78], s[14:15], -v[141:142]
	v_fma_f64 v[141:142], v[77:78], s[14:15], v[141:142]
	v_fma_f64 v[97:98], v[85:86], s[10:11], v[145:146]
	v_fma_f64 v[99:100], v[85:86], s[10:11], -v[145:146]
	v_fma_f64 v[105:106], v[85:86], s[0:1], v[147:148]
	v_fma_f64 v[113:114], v[85:86], s[0:1], -v[147:148]
	;; [unrolled: 2-line block ×3, first 2 shown]
	v_fma_f64 v[147:148], v[89:90], s[14:15], v[153:154]
	v_add_f64 v[38:39], v[38:39], v[161:162]
	v_mul_f64 v[28:29], v[81:82], s[20:21]
	v_mul_f64 v[123:124], v[83:84], s[20:21]
	v_mul_f64 v[107:108], v[81:82], s[18:19]
	v_mul_f64 v[109:110], v[83:84], s[18:19]
	v_mul_f64 v[81:82], v[81:82], s[2:3]
	v_mul_f64 v[83:84], v[83:84], s[2:3]
	v_add_f64 v[40:41], v[40:41], v[95:96]
	v_add_f64 v[20:21], v[26:27], v[20:21]
	;; [unrolled: 1-line block ×3, first 2 shown]
	v_fma_f64 v[24:25], v[85:86], s[12:13], v[143:144]
	v_fma_f64 v[26:27], v[85:86], s[12:13], -v[143:144]
	v_fma_f64 v[143:144], v[85:86], s[14:15], -v[149:150]
	v_fma_f64 v[149:150], v[87:88], s[14:15], v[151:152]
	v_fma_f64 v[151:152], v[89:90], s[14:15], -v[153:154]
	v_fma_f64 v[153:154], v[77:78], s[6:7], -v[75:76]
	v_fma_f64 v[75:76], v[77:78], s[6:7], v[75:76]
	v_fma_f64 v[77:78], v[85:86], s[6:7], v[79:80]
	v_fma_f64 v[79:80], v[85:86], s[6:7], -v[79:80]
	v_add_f64 v[46:47], v[61:62], v[46:47]
	v_add_f64 v[61:62], v[119:120], v[91:92]
	v_add_f64 v[85:86], v[121:122], v[93:94]
	v_add_f64 v[91:92], v[187:188], v[159:160]
	v_add_f64 v[93:94], v[133:134], v[163:164]
	v_add_f64 v[34:35], v[71:72], v[34:35]
	v_add_f64 v[36:37], v[65:66], v[36:37]
	v_add_f64 v[57:58], v[155:156], v[57:58]
	v_add_f64 v[65:66], v[189:190], v[101:102]
	v_add_f64 v[95:96], v[191:192], v[115:116]
	v_add_f64 v[42:43], v[42:43], v[165:166]
	v_add_f64 v[4:5], v[131:132], v[4:5]
	v_add_f64 v[6:7], v[44:45], v[6:7]
	v_add_f64 v[71:72], v[127:128], v[103:104]
	v_add_f64 v[44:45], v[129:130], v[53:54]
	v_add_f64 v[53:54], v[67:68], v[55:56]
	v_add_f64 v[55:56], v[125:126], v[59:60]
	v_add_f64 v[59:60], v[63:64], v[69:70]
	v_fma_f64 v[63:64], v[89:90], s[0:1], v[30:31]
	v_add_f64 v[38:39], v[97:98], v[38:39]
	v_fma_f64 v[67:68], v[87:88], s[0:1], v[73:74]
	v_fma_f64 v[69:70], v[89:90], s[0:1], -v[30:31]
	v_fma_f64 v[30:31], v[87:88], s[12:13], -v[28:29]
	v_fma_f64 v[101:102], v[87:88], s[12:13], v[28:29]
	v_fma_f64 v[103:104], v[89:90], s[12:13], -v[123:124]
	v_fma_f64 v[121:122], v[87:88], s[6:7], -v[81:82]
	;; [unrolled: 1-line block ×3, first 2 shown]
	v_add_f64 v[14:15], v[20:21], v[14:15]
	v_add_f64 v[12:13], v[22:23], v[12:13]
	v_fma_f64 v[22:23], v[87:88], s[0:1], -v[73:74]
	v_fma_f64 v[73:74], v[89:90], s[12:13], v[123:124]
	v_fma_f64 v[123:124], v[89:90], s[6:7], v[83:84]
	;; [unrolled: 1-line block ×4, first 2 shown]
	v_fma_f64 v[109:110], v[89:90], s[10:11], -v[109:110]
	v_fma_f64 v[81:82], v[87:88], s[6:7], v[81:82]
	v_fma_f64 v[83:84], v[89:90], s[6:7], -v[83:84]
	v_add_f64 v[40:41], v[137:138], v[40:41]
	v_add_f64 v[20:21], v[171:172], v[46:47]
	;; [unrolled: 1-line block ×19, first 2 shown]
	v_cmp_gt_u32_e64 s0, 0x63, v48
	v_add_f64 v[91:92], v[14:15], v[10:11]
	v_add_f64 v[93:94], v[12:13], v[8:9]
	;; [unrolled: 1-line block ×24, first 2 shown]
	v_and_b32_e32 v16, 0xffff, v32
	v_lshlrev_b32_e32 v17, 4, v33
	s_delay_alu instid0(VALU_DEP_2) | instskip(NEXT) | instid1(VALU_DEP_1)
	v_mul_u32_u24_e32 v16, 0x16b0, v16
	v_add3_u32 v16, 0, v16, v17
	ds_store_b128 v16, v[24:27] offset:1056
	ds_store_b128 v16, v[28:31] offset:1584
	;; [unrolled: 1-line block ×10, first 2 shown]
	ds_store_b128 v16, v[57:60]
	s_waitcnt lgkmcnt(0)
	s_barrier
	buffer_gl0_inv
	ds_load_b128 v[16:19], v52
	ds_load_b128 v[20:23], v52 offset:2112
	ds_load_b128 v[36:39], v52 offset:5808
	;; [unrolled: 1-line block ×7, first 2 shown]
	s_and_saveexec_b32 s1, s0
	s_cbranch_execz .LBB0_25
; %bb.24:
	ds_load_b128 v[4:7], v52 offset:4224
	ds_load_b128 v[8:11], v52 offset:10032
	;; [unrolled: 1-line block ×4, first 2 shown]
.LBB0_25:
	s_or_b32 exec_lo, exec_lo, s1
	v_mul_u32_u24_e32 v53, 3, v48
	s_delay_alu instid0(VALU_DEP_1) | instskip(NEXT) | instid1(VALU_DEP_1)
	v_lshlrev_b32_e32 v53, 4, v53
	v_add_co_u32 v63, s1, s4, v53
	s_delay_alu instid0(VALU_DEP_1) | instskip(NEXT) | instid1(VALU_DEP_2)
	v_add_co_ci_u32_e64 v64, null, s5, 0, s1
	v_add_co_u32 v61, s1, 0x1600, v63
	s_delay_alu instid0(VALU_DEP_1) | instskip(SKIP_1) | instid1(VALU_DEP_1)
	v_add_co_ci_u32_e64 v62, s1, 0, v64, s1
	v_add_co_u32 v53, s1, 0x1000, v63
	v_add_co_ci_u32_e64 v54, s1, 0, v64, s1
	v_add_co_u32 v65, s1, 0x2000, v63
	s_delay_alu instid0(VALU_DEP_1) | instskip(SKIP_1) | instid1(VALU_DEP_1)
	v_add_co_ci_u32_e64 v66, s1, 0, v64, s1
	v_add_co_u32 v73, s1, 0x2ec0, v63
	v_add_co_ci_u32_e64 v74, s1, 0, v64, s1
	s_clause 0x5
	global_load_b128 v[53:56], v[53:54], off offset:1536
	global_load_b128 v[57:60], v[61:62], off offset:16
	;; [unrolled: 1-line block ×6, first 2 shown]
	s_waitcnt vmcnt(0) lgkmcnt(0)
	s_barrier
	buffer_gl0_inv
	v_mul_f64 v[81:82], v[46:47], v[63:64]
	v_mul_f64 v[77:78], v[38:39], v[55:56]
	;; [unrolled: 1-line block ×12, first 2 shown]
	v_fma_f64 v[44:45], v[44:45], v[61:62], -v[81:82]
	v_fma_f64 v[36:37], v[36:37], v[53:54], -v[77:78]
	v_fma_f64 v[38:39], v[38:39], v[53:54], v[55:56]
	v_fma_f64 v[40:41], v[40:41], v[57:58], -v[79:80]
	v_fma_f64 v[42:43], v[42:43], v[57:58], v[59:60]
	v_fma_f64 v[46:47], v[46:47], v[61:62], v[63:64]
	v_fma_f64 v[24:25], v[24:25], v[65:66], -v[83:84]
	v_fma_f64 v[26:27], v[26:27], v[65:66], v[67:68]
	v_fma_f64 v[28:29], v[28:29], v[69:70], -v[85:86]
	;; [unrolled: 2-line block ×3, first 2 shown]
	v_fma_f64 v[34:35], v[34:35], v[73:74], v[75:76]
	v_add_f64 v[44:45], v[36:37], -v[44:45]
	v_add_f64 v[40:41], v[16:17], -v[40:41]
	;; [unrolled: 1-line block ×8, first 2 shown]
	v_fma_f64 v[32:33], v[36:37], 2.0, -v[44:45]
	v_fma_f64 v[16:17], v[16:17], 2.0, -v[40:41]
	;; [unrolled: 1-line block ×4, first 2 shown]
	v_add_f64 v[18:19], v[40:41], -v[46:47]
	v_fma_f64 v[59:60], v[20:21], 2.0, -v[53:54]
	v_fma_f64 v[61:62], v[22:23], 2.0, -v[55:56]
	;; [unrolled: 1-line block ×4, first 2 shown]
	v_add_f64 v[20:21], v[42:43], v[44:45]
	v_add_f64 v[22:23], v[53:54], -v[30:31]
	v_add_f64 v[24:25], v[55:56], v[28:29]
	v_add_f64 v[26:27], v[16:17], -v[32:33]
	v_add_f64 v[28:29], v[57:58], -v[34:35]
	v_fma_f64 v[34:35], v[40:41], 2.0, -v[18:19]
	v_add_f64 v[30:31], v[59:60], -v[36:37]
	v_add_f64 v[32:33], v[61:62], -v[38:39]
	v_fma_f64 v[36:37], v[42:43], 2.0, -v[20:21]
	v_fma_f64 v[38:39], v[53:54], 2.0, -v[22:23]
	;; [unrolled: 1-line block ×4, first 2 shown]
	v_mov_b32_e32 v17, 0
	v_fma_f64 v[44:45], v[57:58], 2.0, -v[28:29]
	v_fma_f64 v[53:54], v[59:60], 2.0, -v[30:31]
	;; [unrolled: 1-line block ×3, first 2 shown]
	ds_store_b128 v52, v[34:37] offset:5808
	ds_store_b128 v52, v[38:41] offset:7920
	ds_store_b128 v52, v[26:29] offset:11616
	ds_store_b128 v52, v[30:33] offset:13728
	ds_store_b128 v52, v[42:45]
	ds_store_b128 v52, v[53:56] offset:2112
	ds_store_b128 v52, v[18:21] offset:17424
	;; [unrolled: 1-line block ×3, first 2 shown]
	s_and_saveexec_b32 s1, s0
	s_cbranch_execz .LBB0_27
; %bb.26:
	v_add_nc_u32_e32 v16, 0xffffff9d, v48
	s_delay_alu instid0(VALU_DEP_1) | instskip(NEXT) | instid1(VALU_DEP_1)
	v_cndmask_b32_e64 v16, v16, v49, s0
	v_mul_i32_i24_e32 v16, 3, v16
	s_delay_alu instid0(VALU_DEP_1) | instskip(NEXT) | instid1(VALU_DEP_1)
	v_lshlrev_b64 v[16:17], 4, v[16:17]
	v_add_co_u32 v16, s0, s4, v16
	s_delay_alu instid0(VALU_DEP_1) | instskip(NEXT) | instid1(VALU_DEP_2)
	v_add_co_ci_u32_e64 v17, s0, s5, v17, s0
	v_add_co_u32 v24, s0, 0x1600, v16
	s_delay_alu instid0(VALU_DEP_1) | instskip(SKIP_1) | instid1(VALU_DEP_1)
	v_add_co_ci_u32_e64 v25, s0, 0, v17, s0
	v_add_co_u32 v20, s0, 0x1000, v16
	v_add_co_ci_u32_e64 v21, s0, 0, v17, s0
	s_clause 0x2
	global_load_b128 v[16:19], v[24:25], off offset:16
	global_load_b128 v[20:23], v[20:21], off offset:1536
	;; [unrolled: 1-line block ×3, first 2 shown]
	s_waitcnt vmcnt(2)
	v_mul_f64 v[28:29], v[12:13], v[18:19]
	s_waitcnt vmcnt(1)
	v_mul_f64 v[30:31], v[10:11], v[22:23]
	v_mul_f64 v[22:23], v[8:9], v[22:23]
	s_waitcnt vmcnt(0)
	v_mul_f64 v[32:33], v[0:1], v[26:27]
	v_mul_f64 v[18:19], v[14:15], v[18:19]
	;; [unrolled: 1-line block ×3, first 2 shown]
	v_fma_f64 v[14:15], v[14:15], v[16:17], v[28:29]
	v_fma_f64 v[8:9], v[8:9], v[20:21], -v[30:31]
	v_fma_f64 v[10:11], v[10:11], v[20:21], v[22:23]
	v_fma_f64 v[2:3], v[2:3], v[24:25], v[32:33]
	v_fma_f64 v[12:13], v[12:13], v[16:17], -v[18:19]
	v_fma_f64 v[0:1], v[0:1], v[24:25], -v[26:27]
	v_add_f64 v[14:15], v[6:7], -v[14:15]
	s_delay_alu instid0(VALU_DEP_4) | instskip(NEXT) | instid1(VALU_DEP_4)
	v_add_f64 v[16:17], v[10:11], -v[2:3]
	v_add_f64 v[18:19], v[4:5], -v[12:13]
	s_delay_alu instid0(VALU_DEP_4) | instskip(NEXT) | instid1(VALU_DEP_4)
	v_add_f64 v[0:1], v[8:9], -v[0:1]
	v_fma_f64 v[12:13], v[6:7], 2.0, -v[14:15]
	s_delay_alu instid0(VALU_DEP_4) | instskip(NEXT) | instid1(VALU_DEP_4)
	v_fma_f64 v[6:7], v[10:11], 2.0, -v[16:17]
	v_fma_f64 v[20:21], v[4:5], 2.0, -v[18:19]
	s_delay_alu instid0(VALU_DEP_4) | instskip(SKIP_3) | instid1(VALU_DEP_4)
	v_fma_f64 v[4:5], v[8:9], 2.0, -v[0:1]
	v_add_f64 v[2:3], v[14:15], v[0:1]
	v_add_f64 v[0:1], v[18:19], -v[16:17]
	v_add_f64 v[6:7], v[12:13], -v[6:7]
	;; [unrolled: 1-line block ×3, first 2 shown]
	s_delay_alu instid0(VALU_DEP_4) | instskip(NEXT) | instid1(VALU_DEP_4)
	v_fma_f64 v[10:11], v[14:15], 2.0, -v[2:3]
	v_fma_f64 v[8:9], v[18:19], 2.0, -v[0:1]
	s_delay_alu instid0(VALU_DEP_4) | instskip(NEXT) | instid1(VALU_DEP_4)
	v_fma_f64 v[14:15], v[12:13], 2.0, -v[6:7]
	v_fma_f64 v[12:13], v[20:21], 2.0, -v[4:5]
	ds_store_b128 v52, v[12:15] offset:4224
	ds_store_b128 v52, v[8:11] offset:10032
	;; [unrolled: 1-line block ×4, first 2 shown]
.LBB0_27:
	s_or_b32 exec_lo, exec_lo, s1
	s_waitcnt lgkmcnt(0)
	s_barrier
	buffer_gl0_inv
	s_and_saveexec_b32 s0, vcc_lo
	s_cbranch_execz .LBB0_29
; %bb.28:
	v_lshl_add_u32 v28, v48, 4, 0
	v_dual_mov_b32 v49, 0 :: v_dual_add_nc_u32 v8, 0x84, v48
	v_add_co_u32 v30, vcc_lo, s8, v50
	ds_load_b128 v[0:3], v28
	ds_load_b128 v[4:7], v28 offset:2112
	v_dual_mov_b32 v9, v49 :: v_dual_add_nc_u32 v12, 0x108, v48
	v_lshlrev_b64 v[10:11], 4, v[48:49]
	v_add_co_ci_u32_e32 v31, vcc_lo, s9, v51, vcc_lo
	s_delay_alu instid0(VALU_DEP_3) | instskip(SKIP_1) | instid1(VALU_DEP_4)
	v_lshlrev_b64 v[8:9], 4, v[8:9]
	v_dual_mov_b32 v13, v49 :: v_dual_add_nc_u32 v14, 0x18c, v48
	v_add_co_u32 v10, vcc_lo, v30, v10
	s_delay_alu instid0(VALU_DEP_4) | instskip(NEXT) | instid1(VALU_DEP_4)
	v_add_co_ci_u32_e32 v11, vcc_lo, v31, v11, vcc_lo
	v_add_co_u32 v8, vcc_lo, v30, v8
	v_add_co_ci_u32_e32 v9, vcc_lo, v31, v9, vcc_lo
	v_lshlrev_b64 v[12:13], 4, v[12:13]
	v_mov_b32_e32 v15, v49
	v_dual_mov_b32 v23, v49 :: v_dual_add_nc_u32 v24, 0x318, v48
	s_waitcnt lgkmcnt(1)
	global_store_b128 v[10:11], v[0:3], off
	s_waitcnt lgkmcnt(0)
	global_store_b128 v[8:9], v[4:7], off
	v_dual_mov_b32 v9, v49 :: v_dual_add_nc_u32 v8, 0x210, v48
	v_add_nc_u32_e32 v22, 0x294, v48
	ds_load_b128 v[0:3], v28 offset:4224
	ds_load_b128 v[4:7], v28 offset:6336
	v_add_co_u32 v16, vcc_lo, v30, v12
	v_add_co_ci_u32_e32 v17, vcc_lo, v31, v13, vcc_lo
	v_lshlrev_b64 v[18:19], 4, v[14:15]
	v_lshlrev_b64 v[20:21], 4, v[8:9]
	ds_load_b128 v[8:11], v28 offset:8448
	ds_load_b128 v[12:15], v28 offset:10560
	v_lshlrev_b64 v[22:23], 4, v[22:23]
	v_mov_b32_e32 v25, v49
	v_add_co_u32 v18, vcc_lo, v30, v18
	v_add_co_ci_u32_e32 v19, vcc_lo, v31, v19, vcc_lo
	v_add_co_u32 v20, vcc_lo, v30, v20
	v_add_co_ci_u32_e32 v21, vcc_lo, v31, v21, vcc_lo
	v_add_co_u32 v22, vcc_lo, v30, v22
	s_waitcnt lgkmcnt(3)
	global_store_b128 v[16:17], v[0:3], off
	s_waitcnt lgkmcnt(2)
	global_store_b128 v[18:19], v[4:7], off
	v_dual_mov_b32 v3, v49 :: v_dual_add_nc_u32 v2, 0x39c, v48
	v_add_co_ci_u32_e32 v23, vcc_lo, v31, v23, vcc_lo
	v_lshlrev_b64 v[0:1], 4, v[24:25]
	s_waitcnt lgkmcnt(1)
	global_store_b128 v[20:21], v[8:11], off
	s_waitcnt lgkmcnt(0)
	global_store_b128 v[22:23], v[12:15], off
	v_add_nc_u32_e32 v10, 0x420, v48
	v_lshlrev_b64 v[8:9], 4, v[2:3]
	v_dual_mov_b32 v11, v49 :: v_dual_add_nc_u32 v24, 0x4a4, v48
	v_add_co_u32 v20, vcc_lo, v30, v0
	v_add_co_ci_u32_e32 v21, vcc_lo, v31, v1, vcc_lo
	s_delay_alu instid0(VALU_DEP_4)
	v_add_co_u32 v22, vcc_lo, v30, v8
	ds_load_b128 v[0:3], v28 offset:12672
	ds_load_b128 v[4:7], v28 offset:14784
	v_add_co_ci_u32_e32 v23, vcc_lo, v31, v9, vcc_lo
	v_lshlrev_b64 v[26:27], 4, v[10:11]
	ds_load_b128 v[8:11], v28 offset:16896
	ds_load_b128 v[12:15], v28 offset:19008
	;; [unrolled: 1-line block ×3, first 2 shown]
	v_add_nc_u32_e32 v48, 0x528, v48
	v_lshlrev_b64 v[24:25], 4, v[24:25]
	v_add_co_u32 v26, vcc_lo, v30, v26
	s_delay_alu instid0(VALU_DEP_3) | instskip(SKIP_1) | instid1(VALU_DEP_4)
	v_lshlrev_b64 v[28:29], 4, v[48:49]
	v_add_co_ci_u32_e32 v27, vcc_lo, v31, v27, vcc_lo
	v_add_co_u32 v24, vcc_lo, v30, v24
	v_add_co_ci_u32_e32 v25, vcc_lo, v31, v25, vcc_lo
	s_delay_alu instid0(VALU_DEP_4)
	v_add_co_u32 v28, vcc_lo, v30, v28
	v_add_co_ci_u32_e32 v29, vcc_lo, v31, v29, vcc_lo
	s_waitcnt lgkmcnt(4)
	global_store_b128 v[20:21], v[0:3], off
	s_waitcnt lgkmcnt(3)
	global_store_b128 v[22:23], v[4:7], off
	;; [unrolled: 2-line block ×5, first 2 shown]
.LBB0_29:
	s_nop 0
	s_sendmsg sendmsg(MSG_DEALLOC_VGPRS)
	s_endpgm
	.section	.rodata,"a",@progbits
	.p2align	6, 0x0
	.amdhsa_kernel fft_rtc_fwd_len1452_factors_11_3_11_4_wgs_132_tpt_132_halfLds_dp_ip_CI_unitstride_sbrr_C2R_dirReg
		.amdhsa_group_segment_fixed_size 0
		.amdhsa_private_segment_fixed_size 0
		.amdhsa_kernarg_size 88
		.amdhsa_user_sgpr_count 15
		.amdhsa_user_sgpr_dispatch_ptr 0
		.amdhsa_user_sgpr_queue_ptr 0
		.amdhsa_user_sgpr_kernarg_segment_ptr 1
		.amdhsa_user_sgpr_dispatch_id 0
		.amdhsa_user_sgpr_private_segment_size 0
		.amdhsa_wavefront_size32 1
		.amdhsa_uses_dynamic_stack 0
		.amdhsa_enable_private_segment 0
		.amdhsa_system_sgpr_workgroup_id_x 1
		.amdhsa_system_sgpr_workgroup_id_y 0
		.amdhsa_system_sgpr_workgroup_id_z 0
		.amdhsa_system_sgpr_workgroup_info 0
		.amdhsa_system_vgpr_workitem_id 0
		.amdhsa_next_free_vgpr 193
		.amdhsa_next_free_sgpr 30
		.amdhsa_reserve_vcc 1
		.amdhsa_float_round_mode_32 0
		.amdhsa_float_round_mode_16_64 0
		.amdhsa_float_denorm_mode_32 3
		.amdhsa_float_denorm_mode_16_64 3
		.amdhsa_dx10_clamp 1
		.amdhsa_ieee_mode 1
		.amdhsa_fp16_overflow 0
		.amdhsa_workgroup_processor_mode 1
		.amdhsa_memory_ordered 1
		.amdhsa_forward_progress 0
		.amdhsa_shared_vgpr_count 0
		.amdhsa_exception_fp_ieee_invalid_op 0
		.amdhsa_exception_fp_denorm_src 0
		.amdhsa_exception_fp_ieee_div_zero 0
		.amdhsa_exception_fp_ieee_overflow 0
		.amdhsa_exception_fp_ieee_underflow 0
		.amdhsa_exception_fp_ieee_inexact 0
		.amdhsa_exception_int_div_zero 0
	.end_amdhsa_kernel
	.text
.Lfunc_end0:
	.size	fft_rtc_fwd_len1452_factors_11_3_11_4_wgs_132_tpt_132_halfLds_dp_ip_CI_unitstride_sbrr_C2R_dirReg, .Lfunc_end0-fft_rtc_fwd_len1452_factors_11_3_11_4_wgs_132_tpt_132_halfLds_dp_ip_CI_unitstride_sbrr_C2R_dirReg
                                        ; -- End function
	.section	.AMDGPU.csdata,"",@progbits
; Kernel info:
; codeLenInByte = 12420
; NumSgprs: 32
; NumVgprs: 193
; ScratchSize: 0
; MemoryBound: 0
; FloatMode: 240
; IeeeMode: 1
; LDSByteSize: 0 bytes/workgroup (compile time only)
; SGPRBlocks: 3
; VGPRBlocks: 24
; NumSGPRsForWavesPerEU: 32
; NumVGPRsForWavesPerEU: 193
; Occupancy: 7
; WaveLimiterHint : 1
; COMPUTE_PGM_RSRC2:SCRATCH_EN: 0
; COMPUTE_PGM_RSRC2:USER_SGPR: 15
; COMPUTE_PGM_RSRC2:TRAP_HANDLER: 0
; COMPUTE_PGM_RSRC2:TGID_X_EN: 1
; COMPUTE_PGM_RSRC2:TGID_Y_EN: 0
; COMPUTE_PGM_RSRC2:TGID_Z_EN: 0
; COMPUTE_PGM_RSRC2:TIDIG_COMP_CNT: 0
	.text
	.p2alignl 7, 3214868480
	.fill 96, 4, 3214868480
	.type	__hip_cuid_4a928b90e110c35d,@object ; @__hip_cuid_4a928b90e110c35d
	.section	.bss,"aw",@nobits
	.globl	__hip_cuid_4a928b90e110c35d
__hip_cuid_4a928b90e110c35d:
	.byte	0                               ; 0x0
	.size	__hip_cuid_4a928b90e110c35d, 1

	.ident	"AMD clang version 19.0.0git (https://github.com/RadeonOpenCompute/llvm-project roc-6.4.0 25133 c7fe45cf4b819c5991fe208aaa96edf142730f1d)"
	.section	".note.GNU-stack","",@progbits
	.addrsig
	.addrsig_sym __hip_cuid_4a928b90e110c35d
	.amdgpu_metadata
---
amdhsa.kernels:
  - .args:
      - .actual_access:  read_only
        .address_space:  global
        .offset:         0
        .size:           8
        .value_kind:     global_buffer
      - .offset:         8
        .size:           8
        .value_kind:     by_value
      - .actual_access:  read_only
        .address_space:  global
        .offset:         16
        .size:           8
        .value_kind:     global_buffer
      - .actual_access:  read_only
        .address_space:  global
        .offset:         24
        .size:           8
        .value_kind:     global_buffer
      - .offset:         32
        .size:           8
        .value_kind:     by_value
      - .actual_access:  read_only
        .address_space:  global
        .offset:         40
        .size:           8
        .value_kind:     global_buffer
      - .actual_access:  read_only
        .address_space:  global
        .offset:         48
        .size:           8
        .value_kind:     global_buffer
      - .offset:         56
        .size:           4
        .value_kind:     by_value
      - .actual_access:  read_only
        .address_space:  global
        .offset:         64
        .size:           8
        .value_kind:     global_buffer
      - .actual_access:  read_only
        .address_space:  global
        .offset:         72
        .size:           8
        .value_kind:     global_buffer
      - .address_space:  global
        .offset:         80
        .size:           8
        .value_kind:     global_buffer
    .group_segment_fixed_size: 0
    .kernarg_segment_align: 8
    .kernarg_segment_size: 88
    .language:       OpenCL C
    .language_version:
      - 2
      - 0
    .max_flat_workgroup_size: 132
    .name:           fft_rtc_fwd_len1452_factors_11_3_11_4_wgs_132_tpt_132_halfLds_dp_ip_CI_unitstride_sbrr_C2R_dirReg
    .private_segment_fixed_size: 0
    .sgpr_count:     32
    .sgpr_spill_count: 0
    .symbol:         fft_rtc_fwd_len1452_factors_11_3_11_4_wgs_132_tpt_132_halfLds_dp_ip_CI_unitstride_sbrr_C2R_dirReg.kd
    .uniform_work_group_size: 1
    .uses_dynamic_stack: false
    .vgpr_count:     193
    .vgpr_spill_count: 0
    .wavefront_size: 32
    .workgroup_processor_mode: 1
amdhsa.target:   amdgcn-amd-amdhsa--gfx1100
amdhsa.version:
  - 1
  - 2
...

	.end_amdgpu_metadata
